;; amdgpu-corpus repo=pytorch/pytorch kind=compiled arch=gfx1100 opt=O3
	.text
	.amdgcn_target "amdgcn-amd-amdhsa--gfx1100"
	.amdhsa_code_object_version 6
	.section	.text._ZN2at6native12_GLOBAL__N_125multi_tensor_apply_kernelINS1_32FusedOptimizerTensorListMetadataILi3EEENS1_23FusedAdagradMathFunctorIdEEJPKfddddbS8_S8_EEEvT_T0_DpT1_,"axG",@progbits,_ZN2at6native12_GLOBAL__N_125multi_tensor_apply_kernelINS1_32FusedOptimizerTensorListMetadataILi3EEENS1_23FusedAdagradMathFunctorIdEEJPKfddddbS8_S8_EEEvT_T0_DpT1_,comdat
	.globl	_ZN2at6native12_GLOBAL__N_125multi_tensor_apply_kernelINS1_32FusedOptimizerTensorListMetadataILi3EEENS1_23FusedAdagradMathFunctorIdEEJPKfddddbS8_S8_EEEvT_T0_DpT1_ ; -- Begin function _ZN2at6native12_GLOBAL__N_125multi_tensor_apply_kernelINS1_32FusedOptimizerTensorListMetadataILi3EEENS1_23FusedAdagradMathFunctorIdEEJPKfddddbS8_S8_EEEvT_T0_DpT1_
	.p2align	8
	.type	_ZN2at6native12_GLOBAL__N_125multi_tensor_apply_kernelINS1_32FusedOptimizerTensorListMetadataILi3EEENS1_23FusedAdagradMathFunctorIdEEJPKfddddbS8_S8_EEEvT_T0_DpT1_,@function
_ZN2at6native12_GLOBAL__N_125multi_tensor_apply_kernelINS1_32FusedOptimizerTensorListMetadataILi3EEENS1_23FusedAdagradMathFunctorIdEEJPKfddddbS8_S8_EEEvT_T0_DpT1_: ; @_ZN2at6native12_GLOBAL__N_125multi_tensor_apply_kernelINS1_32FusedOptimizerTensorListMetadataILi3EEENS1_23FusedAdagradMathFunctorIdEEJPKfddddbS8_S8_EEEvT_T0_DpT1_
; %bb.0:
	s_load_b256 s[4:11], s[0:1], 0xdd0
	v_mov_b32_e32 v1, s15
	s_add_u32 s2, s0, s15
	s_mul_hi_u32 s12, s15, 3
	s_mul_i32 s15, s15, 3
	s_addc_u32 s13, s1, 0
	global_load_u8 v1, v1, s[0:1] offset:1920
	s_add_u32 s16, s2, s15
	s_addc_u32 s17, s13, s12
	s_waitcnt lgkmcnt(0)
	s_cmp_eq_u64 s[4:5], 0
	s_waitcnt vmcnt(0)
	v_readfirstlane_b32 s3, v1
	v_dual_mov_b32 v1, s6 :: v_dual_mov_b32 v2, s7
	s_cbranch_scc1 .LBB0_2
; %bb.1:
	s_load_b32 s2, s[4:5], 0x0
	s_waitcnt lgkmcnt(0)
	v_cvt_f64_f32_e32 v[1:2], s2
.LBB0_2:
	s_load_b128 s[12:15], s[0:1], 0xe00
	s_waitcnt lgkmcnt(0)
	s_cmp_eq_u64 s[14:15], 0
	s_cselect_b32 s2, -1, 0
	s_delay_alu instid0(SALU_CYCLE_1)
	s_and_b32 vcc_lo, exec_lo, s2
	s_cbranch_vccnz .LBB0_4
; %bb.3:
	s_load_b32 s2, s[14:15], 0x0
	s_waitcnt lgkmcnt(0)
	v_cmp_neq_f32_e64 s2, s2, 1.0
.LBB0_4:
	s_delay_alu instid0(VALU_DEP_1)
	s_and_not1_b32 vcc_lo, exec_lo, s2
	s_cbranch_vccnz .LBB0_74
; %bb.5:
	s_load_b32 s2, s[0:1], 0xdf8
	s_waitcnt lgkmcnt(0)
	s_bitcmp1_b32 s2, 0
	s_cselect_b32 s2, -1, 0
	s_and_b32 s3, s3, 0xff
	s_delay_alu instid0(SALU_CYCLE_1)
	s_lshl_b32 s3, s3, 3
	s_load_b64 s[4:5], s[0:1], s3 offset:0x600
	s_waitcnt lgkmcnt(0)
	s_load_b32 s4, s[4:5], 0x0
	s_waitcnt lgkmcnt(0)
	v_add_f32_e64 v3, s4, -1.0
	s_clause 0x5
	s_load_b32 s4, s[16:17], 0x8c0
	s_load_b64 s[6:7], s[0:1], s3 offset:0x480
	s_load_b64 s[18:19], s[0:1], s3 offset:0x0
	;; [unrolled: 1-line block ×4, first 2 shown]
	s_load_b64 s[16:17], s[0:1], 0xdf0
	v_cvt_f64_f32_e32 v[3:4], v3
	s_waitcnt lgkmcnt(0)
	s_ashr_i32 s5, s4, 31
	s_delay_alu instid0(VALU_DEP_1) | instskip(SKIP_1) | instid1(SALU_CYCLE_1)
	v_fma_f64 v[3:4], v[3:4], s[8:9], 1.0
	s_lshl_b64 s[8:9], s[4:5], 16
	s_sub_u32 s8, s6, s8
	s_subb_u32 s9, s7, s9
	s_lshl_b64 s[14:15], s[4:5], 19
	s_mov_b32 s5, 0
	s_add_u32 s7, s18, s14
	s_addc_u32 s24, s19, s15
	s_and_b32 s3, s7, 31
	s_add_u32 s25, s20, s14
	s_addc_u32 s26, s21, s15
	s_add_u32 s27, s22, s14
	s_addc_u32 s28, s23, s15
	s_or_b32 s4, s27, s25
	s_delay_alu instid0(SALU_CYCLE_1) | instskip(NEXT) | instid1(SALU_CYCLE_1)
	s_and_b32 s4, s4, 31
	s_cmp_lg_u32 s4, 0
	s_cselect_b32 s29, -1, 0
	s_and_b32 s4, s6, 3
	s_delay_alu instid0(SALU_CYCLE_1) | instskip(NEXT) | instid1(SALU_CYCLE_1)
	s_or_b32 s4, s3, s4
	s_cmp_lg_u64 s[4:5], 0
	s_cselect_b32 s3, -1, 0
	s_delay_alu instid0(SALU_CYCLE_1) | instskip(NEXT) | instid1(VALU_DEP_1)
	s_or_b32 s3, s29, s3
	v_div_scale_f64 v[5:6], null, v[3:4], v[3:4], v[1:2]
	v_div_scale_f64 v[11:12], vcc_lo, v[1:2], v[3:4], v[1:2]
	s_delay_alu instid0(VALU_DEP_2) | instskip(SKIP_2) | instid1(VALU_DEP_1)
	v_rcp_f64_e32 v[7:8], v[5:6]
	s_waitcnt_depctr 0xfff
	v_fma_f64 v[9:10], -v[5:6], v[7:8], 1.0
	v_fma_f64 v[7:8], v[7:8], v[9:10], v[7:8]
	s_delay_alu instid0(VALU_DEP_1) | instskip(NEXT) | instid1(VALU_DEP_1)
	v_fma_f64 v[9:10], -v[5:6], v[7:8], 1.0
	v_fma_f64 v[7:8], v[7:8], v[9:10], v[7:8]
	s_delay_alu instid0(VALU_DEP_1) | instskip(NEXT) | instid1(VALU_DEP_1)
	v_mul_f64 v[9:10], v[11:12], v[7:8]
	v_fma_f64 v[5:6], -v[5:6], v[9:10], v[11:12]
	s_delay_alu instid0(VALU_DEP_1) | instskip(SKIP_2) | instid1(VALU_DEP_1)
	v_div_fmas_f64 v[5:6], v[5:6], v[7:8], v[9:10]
	s_and_not1_b32 vcc_lo, exec_lo, s3
	s_mov_b32 s3, -1
	v_div_fixup_f64 v[25:26], v[5:6], v[3:4], v[1:2]
	s_cbranch_vccz .LBB0_20
; %bb.6:
	v_dual_mov_b32 v28, 0 :: v_dual_lshlrev_b32 v27, 2, v0
	s_mov_b32 s29, exec_lo
	s_delay_alu instid0(VALU_DEP_1)
	v_cmpx_gt_i64_e64 s[8:9], v[27:28]
	s_cbranch_execz .LBB0_19
; %bb.7:
	v_cmp_neq_f64_e64 s3, s[10:11], 0
	s_load_b32 s4, s[0:1], 0xe1c
	s_cmp_lg_u64 s[12:13], 0
	s_mov_b32 s31, 0
	s_cselect_b32 s30, -1, 0
	s_waitcnt lgkmcnt(0)
	s_and_b32 s4, s4, 0xffff
	s_delay_alu instid0(SALU_CYCLE_1) | instskip(SKIP_3) | instid1(VALU_DEP_2)
	v_add_lshl_u32 v27, v0, s4, 2
	v_dual_mov_b32 v30, v28 :: v_dual_lshlrev_b32 v37, 5, v0
	s_lshl_b32 s33, s4, 2
	s_lshl_b32 s34, s4, 5
	v_mov_b32_e32 v29, v27
	s_branch .LBB0_9
.LBB0_8:                                ;   in Loop: Header=BB0_9 Depth=1
	v_cmp_le_i64_e32 vcc_lo, s[8:9], v[29:30]
	v_cmp_lt_u64_e64 s4, 0xffff, v[29:30]
	s_clause 0x1
	global_store_b128 v[31:32], v[21:24], off
	global_store_b128 v[31:32], v[17:20], off offset:16
	s_or_b32 s4, vcc_lo, s4
	s_add_u32 s7, s7, s34
	s_addc_u32 s24, s24, 0
	s_add_u32 s27, s27, s34
	v_add_co_u32 v29, vcc_lo, v29, s33
	s_addc_u32 s28, s28, 0
	s_add_u32 s25, s25, s34
	v_add_co_ci_u32_e32 v30, vcc_lo, 0, v30, vcc_lo
	s_addc_u32 s26, s26, 0
	s_and_b32 s4, exec_lo, s4
	s_delay_alu instid0(SALU_CYCLE_1) | instskip(NEXT) | instid1(SALU_CYCLE_1)
	s_or_b32 s31, s4, s31
	s_and_not1_b32 exec_lo, exec_lo, s31
	s_cbranch_execz .LBB0_19
.LBB0_9:                                ; =>This Inner Loop Header: Depth=1
	v_add_co_u32 v35, s4, s7, v37
	s_delay_alu instid0(VALU_DEP_1) | instskip(SKIP_1) | instid1(VALU_DEP_1)
	v_add_co_ci_u32_e64 v36, null, s24, 0, s4
	v_add_co_u32 v33, s4, s25, v37
	v_add_co_ci_u32_e64 v34, null, s26, 0, s4
	v_add_co_u32 v31, s4, s27, v37
	s_delay_alu instid0(VALU_DEP_1)
	v_add_co_ci_u32_e64 v32, null, s28, 0, s4
	s_clause 0x1
	global_load_b128 v[9:12], v[35:36], off offset:16
	global_load_b128 v[13:16], v[35:36], off
	s_clause 0x1
	global_load_b128 v[1:4], v[33:34], off offset:16
	global_load_b128 v[5:8], v[33:34], off
	;; [unrolled: 3-line block ×3, first 2 shown]
	s_and_not1_b32 vcc_lo, exec_lo, s30
	s_cbranch_vccnz .LBB0_11
; %bb.10:                               ;   in Loop: Header=BB0_9 Depth=1
	global_load_b32 v27, v28, s[12:13]
	s_waitcnt vmcnt(0)
	v_cvt_f64_f32_e32 v[38:39], v27
	s_delay_alu instid0(VALU_DEP_1) | instskip(NEXT) | instid1(VALU_DEP_1)
	v_div_scale_f64 v[40:41], null, v[38:39], v[38:39], v[5:6]
	v_rcp_f64_e32 v[42:43], v[40:41]
	s_waitcnt_depctr 0xfff
	v_fma_f64 v[44:45], -v[40:41], v[42:43], 1.0
	s_delay_alu instid0(VALU_DEP_1) | instskip(NEXT) | instid1(VALU_DEP_1)
	v_fma_f64 v[42:43], v[42:43], v[44:45], v[42:43]
	v_fma_f64 v[44:45], -v[40:41], v[42:43], 1.0
	s_delay_alu instid0(VALU_DEP_1) | instskip(SKIP_1) | instid1(VALU_DEP_1)
	v_fma_f64 v[42:43], v[42:43], v[44:45], v[42:43]
	v_div_scale_f64 v[44:45], vcc_lo, v[5:6], v[38:39], v[5:6]
	v_mul_f64 v[46:47], v[44:45], v[42:43]
	s_delay_alu instid0(VALU_DEP_1) | instskip(NEXT) | instid1(VALU_DEP_1)
	v_fma_f64 v[40:41], -v[40:41], v[46:47], v[44:45]
	v_div_fmas_f64 v[40:41], v[40:41], v[42:43], v[46:47]
	s_delay_alu instid0(VALU_DEP_1)
	v_div_fixup_f64 v[5:6], v[40:41], v[38:39], v[5:6]
.LBB0_11:                               ;   in Loop: Header=BB0_9 Depth=1
	s_and_not1_b32 vcc_lo, exec_lo, s30
	s_cbranch_vccnz .LBB0_13
; %bb.12:                               ;   in Loop: Header=BB0_9 Depth=1
	global_load_b32 v27, v28, s[12:13]
	s_waitcnt vmcnt(0)
	v_cvt_f64_f32_e32 v[38:39], v27
	s_delay_alu instid0(VALU_DEP_1) | instskip(NEXT) | instid1(VALU_DEP_1)
	v_div_scale_f64 v[40:41], null, v[38:39], v[38:39], v[7:8]
	v_rcp_f64_e32 v[42:43], v[40:41]
	s_waitcnt_depctr 0xfff
	v_fma_f64 v[44:45], -v[40:41], v[42:43], 1.0
	s_delay_alu instid0(VALU_DEP_1) | instskip(NEXT) | instid1(VALU_DEP_1)
	v_fma_f64 v[42:43], v[42:43], v[44:45], v[42:43]
	v_fma_f64 v[44:45], -v[40:41], v[42:43], 1.0
	s_delay_alu instid0(VALU_DEP_1) | instskip(SKIP_1) | instid1(VALU_DEP_1)
	v_fma_f64 v[42:43], v[42:43], v[44:45], v[42:43]
	v_div_scale_f64 v[44:45], vcc_lo, v[7:8], v[38:39], v[7:8]
	v_mul_f64 v[46:47], v[44:45], v[42:43]
	s_delay_alu instid0(VALU_DEP_1) | instskip(NEXT) | instid1(VALU_DEP_1)
	v_fma_f64 v[40:41], -v[40:41], v[46:47], v[44:45]
	v_div_fmas_f64 v[40:41], v[40:41], v[42:43], v[46:47]
	s_delay_alu instid0(VALU_DEP_1)
	v_div_fixup_f64 v[7:8], v[40:41], v[38:39], v[7:8]
.LBB0_13:                               ;   in Loop: Header=BB0_9 Depth=1
	;; [unrolled: 24-line block ×4, first 2 shown]
	s_waitcnt vmcnt(3)
	s_delay_alu instid0(VALU_DEP_1) | instskip(SKIP_1) | instid1(VALU_DEP_2)
	v_xor_b32_e32 v27, 0x80000000, v2
	s_waitcnt vmcnt(2)
	v_xor_b32_e32 v41, 0x80000000, v8
	s_delay_alu instid0(VALU_DEP_3) | instskip(NEXT) | instid1(VALU_DEP_4)
	v_xor_b32_e32 v43, 0x80000000, v6
	v_cndmask_b32_e64 v38, v1, v1, s2
	v_cndmask_b32_e64 v40, v7, v7, s2
	;; [unrolled: 1-line block ×3, first 2 shown]
	v_xor_b32_e32 v27, 0x80000000, v4
	v_cndmask_b32_e64 v41, v8, v41, s2
	v_cndmask_b32_e64 v42, v5, v5, s2
	;; [unrolled: 1-line block ×3, first 2 shown]
	v_fma_f64 v[44:45], v[9:10], s[10:11], v[38:39]
	v_cndmask_b32_e64 v47, v4, v27, s2
	v_cndmask_b32_e64 v46, v3, v3, s2
	v_fma_f64 v[48:49], v[15:16], s[10:11], v[40:41]
	v_fma_f64 v[50:51], v[13:14], s[10:11], v[42:43]
	s_delay_alu instid0(VALU_DEP_3)
	v_fma_f64 v[52:53], v[11:12], s[10:11], v[46:47]
	v_cndmask_b32_e64 v39, v39, v45, s3
	v_cndmask_b32_e64 v38, v38, v44, s3
	;; [unrolled: 1-line block ×6, first 2 shown]
	s_waitcnt vmcnt(1)
	v_fma_f64 v[17:18], v[38:39], v[38:39], v[17:18]
	v_cndmask_b32_e64 v45, v47, v53, s3
	v_cndmask_b32_e64 v44, v46, v52, s3
	s_waitcnt vmcnt(0)
	v_fma_f64 v[23:24], v[40:41], v[40:41], v[23:24]
	v_fma_f64 v[21:22], v[42:43], v[42:43], v[21:22]
	v_mul_f64 v[38:39], v[25:26], v[38:39]
	v_mul_f64 v[40:41], v[25:26], v[40:41]
	v_fma_f64 v[19:20], v[44:45], v[44:45], v[19:20]
	v_mul_f64 v[42:43], v[25:26], v[42:43]
	v_mul_f64 v[44:45], v[25:26], v[44:45]
	v_cmp_gt_f64_e32 vcc_lo, 0x10000000, v[17:18]
	v_cmp_gt_f64_e64 s4, 0x10000000, v[23:24]
	v_cmp_gt_f64_e64 s5, 0x10000000, v[21:22]
	;; [unrolled: 1-line block ×3, first 2 shown]
	v_cndmask_b32_e64 v27, 0, 1, vcc_lo
	s_delay_alu instid0(VALU_DEP_4) | instskip(NEXT) | instid1(VALU_DEP_4)
	v_cndmask_b32_e64 v46, 0, 1, s4
	v_cndmask_b32_e64 v47, 0, 1, s5
	s_delay_alu instid0(VALU_DEP_3) | instskip(SKIP_1) | instid1(VALU_DEP_4)
	v_lshlrev_b32_e32 v27, 8, v27
	v_cndmask_b32_e64 v48, 0, 1, s6
	v_lshlrev_b32_e32 v49, 8, v46
	s_delay_alu instid0(VALU_DEP_4) | instskip(NEXT) | instid1(VALU_DEP_4)
	v_lshlrev_b32_e32 v50, 8, v47
	v_ldexp_f64 v[46:47], v[17:18], v27
	s_delay_alu instid0(VALU_DEP_4) | instskip(NEXT) | instid1(VALU_DEP_4)
	v_lshlrev_b32_e32 v27, 8, v48
	v_ldexp_f64 v[48:49], v[23:24], v49
	s_delay_alu instid0(VALU_DEP_4) | instskip(NEXT) | instid1(VALU_DEP_3)
	v_ldexp_f64 v[50:51], v[21:22], v50
	v_ldexp_f64 v[52:53], v[19:20], v27
	v_cndmask_b32_e64 v27, 0, 0xffffff80, vcc_lo
	v_rsq_f64_e32 v[54:55], v[46:47]
	v_cmp_class_f64_e64 vcc_lo, v[46:47], 0x260
	v_rsq_f64_e32 v[56:57], v[48:49]
	s_delay_alu instid0(VALU_DEP_4) | instskip(NEXT) | instid1(VALU_DEP_3)
	v_rsq_f64_e32 v[58:59], v[50:51]
	v_rsq_f64_e32 v[60:61], v[52:53]
	v_mul_f64 v[62:63], v[46:47], v[54:55]
	v_mul_f64 v[54:55], v[54:55], 0.5
	s_delay_alu instid0(TRANS32_DEP_3)
	v_mul_f64 v[64:65], v[48:49], v[56:57]
	v_mul_f64 v[56:57], v[56:57], 0.5
	s_waitcnt_depctr 0xfff
	v_mul_f64 v[66:67], v[50:51], v[58:59]
	v_mul_f64 v[58:59], v[58:59], 0.5
	v_mul_f64 v[68:69], v[52:53], v[60:61]
	v_mul_f64 v[60:61], v[60:61], 0.5
	v_fma_f64 v[70:71], -v[54:55], v[62:63], 0.5
	v_fma_f64 v[72:73], -v[56:57], v[64:65], 0.5
	;; [unrolled: 1-line block ×3, first 2 shown]
	s_delay_alu instid0(VALU_DEP_4) | instskip(NEXT) | instid1(VALU_DEP_4)
	v_fma_f64 v[76:77], -v[60:61], v[68:69], 0.5
	v_fma_f64 v[62:63], v[62:63], v[70:71], v[62:63]
	v_fma_f64 v[54:55], v[54:55], v[70:71], v[54:55]
	;; [unrolled: 1-line block ×8, first 2 shown]
	v_fma_f64 v[70:71], -v[62:63], v[62:63], v[46:47]
	v_fma_f64 v[72:73], -v[64:65], v[64:65], v[48:49]
	v_fma_f64 v[74:75], -v[66:67], v[66:67], v[50:51]
	v_fma_f64 v[76:77], -v[68:69], v[68:69], v[52:53]
	s_delay_alu instid0(VALU_DEP_4) | instskip(NEXT) | instid1(VALU_DEP_4)
	v_fma_f64 v[62:63], v[70:71], v[54:55], v[62:63]
	v_fma_f64 v[64:65], v[72:73], v[56:57], v[64:65]
	s_delay_alu instid0(VALU_DEP_4) | instskip(NEXT) | instid1(VALU_DEP_4)
	v_fma_f64 v[66:67], v[74:75], v[58:59], v[66:67]
	v_fma_f64 v[68:69], v[76:77], v[60:61], v[68:69]
	s_delay_alu instid0(VALU_DEP_4) | instskip(NEXT) | instid1(VALU_DEP_4)
	v_fma_f64 v[70:71], -v[62:63], v[62:63], v[46:47]
	v_fma_f64 v[72:73], -v[64:65], v[64:65], v[48:49]
	s_delay_alu instid0(VALU_DEP_4) | instskip(NEXT) | instid1(VALU_DEP_4)
	v_fma_f64 v[74:75], -v[66:67], v[66:67], v[50:51]
	v_fma_f64 v[76:77], -v[68:69], v[68:69], v[52:53]
	s_delay_alu instid0(VALU_DEP_4)
	v_fma_f64 v[54:55], v[70:71], v[54:55], v[62:63]
	v_cndmask_b32_e64 v62, 0, 0xffffff80, s4
	v_cndmask_b32_e64 v63, 0, 0xffffff80, s5
	v_fma_f64 v[56:57], v[72:73], v[56:57], v[64:65]
	v_cmp_class_f64_e64 s4, v[48:49], 0x260
	v_fma_f64 v[58:59], v[74:75], v[58:59], v[66:67]
	v_cmp_class_f64_e64 s5, v[50:51], 0x260
	v_fma_f64 v[60:61], v[76:77], v[60:61], v[68:69]
	v_ldexp_f64 v[54:55], v[54:55], v27
	v_cndmask_b32_e64 v27, 0, 0xffffff80, s6
	v_cmp_class_f64_e64 s6, v[52:53], 0x260
	v_ldexp_f64 v[56:57], v[56:57], v62
	v_ldexp_f64 v[58:59], v[58:59], v63
	s_delay_alu instid0(VALU_DEP_4) | instskip(SKIP_1) | instid1(VALU_DEP_4)
	v_ldexp_f64 v[60:61], v[60:61], v27
	v_dual_cndmask_b32 v46, v54, v46 :: v_dual_cndmask_b32 v47, v55, v47
	v_cndmask_b32_e64 v49, v57, v49, s4
	v_cndmask_b32_e64 v48, v56, v48, s4
	;; [unrolled: 1-line block ×4, first 2 shown]
	v_add_f64 v[46:47], v[46:47], s[16:17]
	v_cndmask_b32_e64 v53, v61, v53, s6
	v_cndmask_b32_e64 v52, v60, v52, s6
	v_add_f64 v[48:49], v[48:49], s[16:17]
	v_add_f64 v[50:51], v[50:51], s[16:17]
	s_delay_alu instid0(VALU_DEP_3)
	v_add_f64 v[52:53], v[52:53], s[16:17]
	v_div_scale_f64 v[54:55], null, v[46:47], v[46:47], v[38:39]
	v_div_scale_f64 v[78:79], vcc_lo, v[38:39], v[46:47], v[38:39]
	v_div_scale_f64 v[56:57], null, v[48:49], v[48:49], v[40:41]
	v_div_scale_f64 v[58:59], null, v[50:51], v[50:51], v[42:43]
	;; [unrolled: 1-line block ×3, first 2 shown]
	v_rcp_f64_e32 v[62:63], v[54:55]
	s_delay_alu instid0(VALU_DEP_3) | instskip(NEXT) | instid1(VALU_DEP_2)
	v_rcp_f64_e32 v[64:65], v[56:57]
	v_rcp_f64_e32 v[66:67], v[58:59]
	s_delay_alu instid0(VALU_DEP_1) | instskip(SKIP_1) | instid1(TRANS32_DEP_3)
	v_rcp_f64_e32 v[68:69], v[60:61]
	v_fma_f64 v[70:71], -v[54:55], v[62:63], 1.0
	v_fma_f64 v[72:73], -v[56:57], v[64:65], 1.0
	s_waitcnt_depctr 0xfff
	v_fma_f64 v[74:75], -v[58:59], v[66:67], 1.0
	v_fma_f64 v[76:77], -v[60:61], v[68:69], 1.0
	v_fma_f64 v[62:63], v[62:63], v[70:71], v[62:63]
	v_fma_f64 v[64:65], v[64:65], v[72:73], v[64:65]
	s_delay_alu instid0(VALU_DEP_4) | instskip(NEXT) | instid1(VALU_DEP_4)
	v_fma_f64 v[66:67], v[66:67], v[74:75], v[66:67]
	v_fma_f64 v[68:69], v[68:69], v[76:77], v[68:69]
	s_delay_alu instid0(VALU_DEP_4) | instskip(NEXT) | instid1(VALU_DEP_4)
	v_fma_f64 v[70:71], -v[54:55], v[62:63], 1.0
	v_fma_f64 v[72:73], -v[56:57], v[64:65], 1.0
	s_delay_alu instid0(VALU_DEP_4) | instskip(NEXT) | instid1(VALU_DEP_4)
	v_fma_f64 v[74:75], -v[58:59], v[66:67], 1.0
	v_fma_f64 v[76:77], -v[60:61], v[68:69], 1.0
	s_delay_alu instid0(VALU_DEP_4)
	v_fma_f64 v[62:63], v[62:63], v[70:71], v[62:63]
	v_div_scale_f64 v[70:71], s4, v[40:41], v[48:49], v[40:41]
	v_fma_f64 v[64:65], v[64:65], v[72:73], v[64:65]
	v_div_scale_f64 v[72:73], s5, v[42:43], v[50:51], v[42:43]
	;; [unrolled: 2-line block ×3, first 2 shown]
	v_fma_f64 v[68:69], v[68:69], v[76:77], v[68:69]
	v_mul_f64 v[76:77], v[78:79], v[62:63]
	v_mul_f64 v[80:81], v[70:71], v[64:65]
	;; [unrolled: 1-line block ×3, first 2 shown]
	s_delay_alu instid0(VALU_DEP_4) | instskip(NEXT) | instid1(VALU_DEP_4)
	v_mul_f64 v[84:85], v[74:75], v[68:69]
	v_fma_f64 v[54:55], -v[54:55], v[76:77], v[78:79]
	s_delay_alu instid0(VALU_DEP_4) | instskip(NEXT) | instid1(VALU_DEP_4)
	v_fma_f64 v[56:57], -v[56:57], v[80:81], v[70:71]
	v_fma_f64 v[58:59], -v[58:59], v[82:83], v[72:73]
	s_delay_alu instid0(VALU_DEP_4) | instskip(NEXT) | instid1(VALU_DEP_4)
	v_fma_f64 v[60:61], -v[60:61], v[84:85], v[74:75]
	v_div_fmas_f64 v[54:55], v[54:55], v[62:63], v[76:77]
	s_mov_b32 vcc_lo, s4
	s_delay_alu instid0(VALU_DEP_4) | instskip(SKIP_1) | instid1(VALU_DEP_4)
	v_div_fmas_f64 v[56:57], v[56:57], v[64:65], v[80:81]
	s_mov_b32 vcc_lo, s5
	v_div_fmas_f64 v[58:59], v[58:59], v[66:67], v[82:83]
	s_mov_b32 vcc_lo, s6
	s_delay_alu instid0(VALU_DEP_4) | instskip(SKIP_1) | instid1(VALU_DEP_4)
	v_div_fmas_f64 v[60:61], v[60:61], v[68:69], v[84:85]
	s_and_not1_b32 vcc_lo, exec_lo, s30
	v_div_fixup_f64 v[38:39], v[54:55], v[46:47], v[38:39]
	s_delay_alu instid0(VALU_DEP_4) | instskip(NEXT) | instid1(VALU_DEP_4)
	v_div_fixup_f64 v[40:41], v[56:57], v[48:49], v[40:41]
	v_div_fixup_f64 v[42:43], v[58:59], v[50:51], v[42:43]
	s_delay_alu instid0(VALU_DEP_4) | instskip(NEXT) | instid1(VALU_DEP_4)
	v_div_fixup_f64 v[44:45], v[60:61], v[52:53], v[44:45]
	v_add_f64 v[9:10], v[9:10], -v[38:39]
	s_delay_alu instid0(VALU_DEP_4) | instskip(NEXT) | instid1(VALU_DEP_4)
	v_add_f64 v[15:16], v[15:16], -v[40:41]
	v_add_f64 v[13:14], v[13:14], -v[42:43]
	s_delay_alu instid0(VALU_DEP_4)
	v_add_f64 v[11:12], v[11:12], -v[44:45]
	s_clause 0x1
	global_store_b128 v[35:36], v[13:16], off
	global_store_b128 v[35:36], v[9:12], off offset:16
	s_cbranch_vccnz .LBB0_8
; %bb.18:                               ;   in Loop: Header=BB0_9 Depth=1
	s_clause 0x1
	global_store_b128 v[33:34], v[5:8], off
	global_store_b128 v[33:34], v[1:4], off offset:16
	s_branch .LBB0_8
.LBB0_19:
	s_or_b32 exec_lo, exec_lo, s29
	s_mov_b32 s3, 0
.LBB0_20:
	s_delay_alu instid0(SALU_CYCLE_1)
	s_and_not1_b32 vcc_lo, exec_lo, s3
	s_cbranch_vccnz .LBB0_74
; %bb.21:
	v_cmp_lt_i64_e64 s3, s[8:9], 1
	s_delay_alu instid0(VALU_DEP_1)
	s_and_b32 vcc_lo, exec_lo, s3
	s_cbranch_vccnz .LBB0_74
; %bb.22:
	s_load_b32 s1, s[0:1], 0xe1c
	v_dual_mov_b32 v2, 0 :: v_dual_lshlrev_b32 v1, 3, v0
	v_cmp_gt_u64_e64 s3, 0x10000, s[8:9]
	v_cmp_neq_f64_e64 s0, s[10:11], 0
	s_delay_alu instid0(VALU_DEP_3) | instskip(NEXT) | instid1(VALU_DEP_1)
	v_add_co_u32 v29, s4, s18, v1
	v_add_co_ci_u32_e64 v30, null, s19, 0, s4
	v_add_co_u32 v31, s4, s20, v1
	s_delay_alu instid0(VALU_DEP_1) | instskip(SKIP_1) | instid1(VALU_DEP_1)
	v_add_co_ci_u32_e64 v32, null, s21, 0, s4
	v_add_co_u32 v33, s4, s22, v1
	v_add_co_ci_u32_e64 v34, null, s23, 0, s4
	s_waitcnt lgkmcnt(0)
	s_and_b32 s1, s1, 0xffff
	s_and_b32 s3, s3, exec_lo
	v_mad_u64_u32 v[3:4], null, s1, 24, v[1:2]
	s_cselect_b32 s7, s9, 0
	s_cselect_b32 s6, s8, 0x10000
	s_lshl_b32 s3, s1, 1
	s_cmp_lg_u64 s[12:13], 0
	s_mul_i32 s4, s1, 3
	s_cselect_b32 s24, -1, 0
	s_delay_alu instid0(VALU_DEP_1)
	v_add_co_u32 v35, vcc_lo, s18, v3
	v_add_co_ci_u32_e32 v36, vcc_lo, s19, v4, vcc_lo
	s_lshl_b32 s5, s1, 4
	v_add_co_u32 v37, vcc_lo, s20, v3
	v_add_co_u32 v1, s5, s5, v1
	v_add_co_ci_u32_e32 v38, vcc_lo, s21, v4, vcc_lo
	v_add_co_u32 v39, vcc_lo, s22, v3
	v_add_co_ci_u32_e64 v2, null, 0, 0, s5
	v_add_co_ci_u32_e32 v40, vcc_lo, s23, v4, vcc_lo
	v_add_co_u32 v41, s4, s4, v0
	v_add_co_u32 v43, vcc_lo, s18, v1
	v_add_co_ci_u32_e64 v42, null, 0, 0, s4
	v_add_co_u32 v47, s4, v0, s1
	v_add_co_ci_u32_e32 v44, vcc_lo, s19, v2, vcc_lo
	v_add_co_u32 v45, vcc_lo, s20, v1
	v_add_co_ci_u32_e32 v46, vcc_lo, s21, v2, vcc_lo
	v_add_co_u32 v48, vcc_lo, s22, v1
	v_lshlrev_b32_e32 v1, 3, v47
	v_add_co_u32 v51, s3, s3, v0
	s_delay_alu instid0(VALU_DEP_1) | instskip(NEXT) | instid1(VALU_DEP_3)
	v_add_co_ci_u32_e64 v52, null, 0, 0, s3
	v_add_co_u32 v53, s3, s18, v1
	s_delay_alu instid0(VALU_DEP_1) | instskip(SKIP_1) | instid1(VALU_DEP_1)
	v_add_co_ci_u32_e64 v54, null, s19, 0, s3
	v_add_co_u32 v55, s3, s20, v1
	v_add_co_ci_u32_e64 v56, null, s21, 0, s3
	v_add_co_u32 v57, s3, s22, v1
	v_add_co_ci_u32_e32 v49, vcc_lo, s23, v2, vcc_lo
	v_add_co_ci_u32_e64 v50, null, 0, 0, s4
	v_add_co_ci_u32_e64 v58, null, s23, 0, s3
	s_mov_b64 s[18:19], 0
	s_lshl_b32 s20, s1, 2
	s_lshl_b32 s21, s1, 5
	s_branch .LBB0_24
.LBB0_23:                               ;   in Loop: Header=BB0_24 Depth=1
	s_or_b32 exec_lo, exec_lo, s1
	v_add_co_u32 v29, vcc_lo, v29, s21
	v_add_co_ci_u32_e32 v30, vcc_lo, 0, v30, vcc_lo
	v_add_co_u32 v31, vcc_lo, v31, s21
	v_add_co_ci_u32_e32 v32, vcc_lo, 0, v32, vcc_lo
	;; [unrolled: 2-line block ×9, first 2 shown]
	s_add_u32 s18, s18, s20
	v_add_co_u32 v53, vcc_lo, v53, s21
	s_addc_u32 s19, s19, 0
	v_add_co_ci_u32_e32 v54, vcc_lo, 0, v54, vcc_lo
	v_cmp_ge_i64_e64 s1, s[18:19], s[8:9]
	v_cmp_lt_u64_e64 s3, 0xffff, s[18:19]
	v_add_co_u32 v55, vcc_lo, v55, s21
	v_add_co_ci_u32_e32 v56, vcc_lo, 0, v56, vcc_lo
	v_add_co_u32 v57, vcc_lo, v57, s21
	v_add_co_ci_u32_e32 v58, vcc_lo, 0, v58, vcc_lo
	s_or_b32 s1, s1, s3
	s_delay_alu instid0(SALU_CYCLE_1)
	s_and_b32 vcc_lo, exec_lo, s1
	s_cbranch_vccnz .LBB0_74
.LBB0_24:                               ; =>This Inner Loop Header: Depth=1
	v_add_co_u32 v1, s1, v0, s18
	s_delay_alu instid0(VALU_DEP_1) | instskip(SKIP_2) | instid1(VALU_DEP_2)
	v_add_co_ci_u32_e64 v2, null, 0, s19, s1
	v_mov_b32_e32 v21, 0
	v_mov_b32_e32 v22, 0
	;; [unrolled: 1-line block ×3, first 2 shown]
	s_delay_alu instid0(VALU_DEP_4) | instskip(NEXT) | instid1(VALU_DEP_3)
	v_cmp_gt_u64_e64 s1, s[6:7], v[1:2]
	v_dual_mov_b32 v1, v21 :: v_dual_mov_b32 v2, v22
	v_mov_b32_e32 v18, v22
	s_delay_alu instid0(VALU_DEP_3)
	s_and_saveexec_b32 s3, s1
	s_cbranch_execz .LBB0_26
; %bb.25:                               ;   in Loop: Header=BB0_24 Depth=1
	v_add_co_u32 v1, vcc_lo, v29, s14
	v_add_co_ci_u32_e32 v2, vcc_lo, s15, v30, vcc_lo
	v_add_co_u32 v3, vcc_lo, v31, s14
	v_add_co_ci_u32_e32 v4, vcc_lo, s15, v32, vcc_lo
	global_load_b64 v[17:18], v[1:2], off
	global_load_b64 v[1:2], v[3:4], off
.LBB0_26:                               ;   in Loop: Header=BB0_24 Depth=1
	s_or_b32 exec_lo, exec_lo, s3
	s_and_saveexec_b32 s3, s1
	s_cbranch_execz .LBB0_28
; %bb.27:                               ;   in Loop: Header=BB0_24 Depth=1
	v_add_co_u32 v3, vcc_lo, v33, s14
	v_add_co_ci_u32_e32 v4, vcc_lo, s15, v34, vcc_lo
	global_load_b64 v[21:22], v[3:4], off
.LBB0_28:                               ;   in Loop: Header=BB0_24 Depth=1
	s_or_b32 exec_lo, exec_lo, s3
	v_add_co_u32 v3, vcc_lo, v47, s18
	v_add_co_ci_u32_e32 v4, vcc_lo, s19, v50, vcc_lo
	v_mov_b32_e32 v23, 0
	v_mov_b32_e32 v24, 0
	s_delay_alu instid0(VALU_DEP_2) | instskip(NEXT) | instid1(VALU_DEP_4)
	v_mov_b32_e32 v13, v23
	v_cmp_gt_u64_e64 s3, s[6:7], v[3:4]
	s_delay_alu instid0(VALU_DEP_3) | instskip(SKIP_1) | instid1(VALU_DEP_3)
	v_dual_mov_b32 v3, v23 :: v_dual_mov_b32 v4, v24
	v_mov_b32_e32 v14, v24
	s_and_saveexec_b32 s4, s3
	s_cbranch_execz .LBB0_30
; %bb.29:                               ;   in Loop: Header=BB0_24 Depth=1
	v_add_co_u32 v3, vcc_lo, v53, s14
	v_add_co_ci_u32_e32 v4, vcc_lo, s15, v54, vcc_lo
	v_add_co_u32 v5, vcc_lo, v55, s14
	v_add_co_ci_u32_e32 v6, vcc_lo, s15, v56, vcc_lo
	global_load_b64 v[13:14], v[3:4], off
	global_load_b64 v[3:4], v[5:6], off
.LBB0_30:                               ;   in Loop: Header=BB0_24 Depth=1
	s_or_b32 exec_lo, exec_lo, s4
	s_and_saveexec_b32 s4, s3
	s_cbranch_execz .LBB0_32
; %bb.31:                               ;   in Loop: Header=BB0_24 Depth=1
	v_add_co_u32 v5, vcc_lo, v57, s14
	v_add_co_ci_u32_e32 v6, vcc_lo, s15, v58, vcc_lo
	global_load_b64 v[23:24], v[5:6], off
.LBB0_32:                               ;   in Loop: Header=BB0_24 Depth=1
	s_or_b32 exec_lo, exec_lo, s4
	v_add_co_u32 v5, vcc_lo, v51, s18
	v_add_co_ci_u32_e32 v6, vcc_lo, s19, v52, vcc_lo
	v_mov_b32_e32 v19, 0
	v_mov_b32_e32 v20, 0
	s_delay_alu instid0(VALU_DEP_2) | instskip(NEXT) | instid1(VALU_DEP_4)
	v_mov_b32_e32 v11, v19
	v_cmp_gt_u64_e64 s4, s[6:7], v[5:6]
	s_delay_alu instid0(VALU_DEP_3) | instskip(SKIP_1) | instid1(VALU_DEP_3)
	v_dual_mov_b32 v5, v19 :: v_dual_mov_b32 v6, v20
	v_mov_b32_e32 v12, v20
	;; [unrolled: 29-line block ×3, first 2 shown]
	s_and_saveexec_b32 s22, s5
	s_cbranch_execnz .LBB0_65
; %bb.37:                               ;   in Loop: Header=BB0_24 Depth=1
	s_or_b32 exec_lo, exec_lo, s22
	s_and_saveexec_b32 s22, s5
	s_cbranch_execnz .LBB0_66
.LBB0_38:                               ;   in Loop: Header=BB0_24 Depth=1
	s_or_b32 exec_lo, exec_lo, s22
	s_delay_alu instid0(SALU_CYCLE_1)
	s_and_not1_b32 vcc_lo, exec_lo, s24
	s_cbranch_vccnz .LBB0_40
.LBB0_39:                               ;   in Loop: Header=BB0_24 Depth=1
	s_load_b32 s22, s[12:13], 0x0
	s_waitcnt lgkmcnt(0)
	v_cvt_f64_f32_e32 v[27:28], s22
	s_waitcnt vmcnt(0)
	s_delay_alu instid0(VALU_DEP_1) | instskip(NEXT) | instid1(VALU_DEP_1)
	v_div_scale_f64 v[59:60], null, v[27:28], v[27:28], v[1:2]
	v_rcp_f64_e32 v[61:62], v[59:60]
	s_waitcnt_depctr 0xfff
	v_fma_f64 v[63:64], -v[59:60], v[61:62], 1.0
	s_delay_alu instid0(VALU_DEP_1) | instskip(NEXT) | instid1(VALU_DEP_1)
	v_fma_f64 v[61:62], v[61:62], v[63:64], v[61:62]
	v_fma_f64 v[63:64], -v[59:60], v[61:62], 1.0
	s_delay_alu instid0(VALU_DEP_1) | instskip(SKIP_1) | instid1(VALU_DEP_1)
	v_fma_f64 v[61:62], v[61:62], v[63:64], v[61:62]
	v_div_scale_f64 v[63:64], vcc_lo, v[1:2], v[27:28], v[1:2]
	v_mul_f64 v[65:66], v[63:64], v[61:62]
	s_delay_alu instid0(VALU_DEP_1) | instskip(NEXT) | instid1(VALU_DEP_1)
	v_fma_f64 v[59:60], -v[59:60], v[65:66], v[63:64]
	v_div_fmas_f64 v[59:60], v[59:60], v[61:62], v[65:66]
	s_delay_alu instid0(VALU_DEP_1)
	v_div_fixup_f64 v[1:2], v[59:60], v[27:28], v[1:2]
.LBB0_40:                               ;   in Loop: Header=BB0_24 Depth=1
	s_and_not1_b32 vcc_lo, exec_lo, s24
	s_cbranch_vccnz .LBB0_42
; %bb.41:                               ;   in Loop: Header=BB0_24 Depth=1
	s_load_b32 s22, s[12:13], 0x0
	s_waitcnt lgkmcnt(0)
	v_cvt_f64_f32_e32 v[27:28], s22
	s_waitcnt vmcnt(0)
	s_delay_alu instid0(VALU_DEP_1) | instskip(NEXT) | instid1(VALU_DEP_1)
	v_div_scale_f64 v[59:60], null, v[27:28], v[27:28], v[3:4]
	v_rcp_f64_e32 v[61:62], v[59:60]
	s_waitcnt_depctr 0xfff
	v_fma_f64 v[63:64], -v[59:60], v[61:62], 1.0
	s_delay_alu instid0(VALU_DEP_1) | instskip(NEXT) | instid1(VALU_DEP_1)
	v_fma_f64 v[61:62], v[61:62], v[63:64], v[61:62]
	v_fma_f64 v[63:64], -v[59:60], v[61:62], 1.0
	s_delay_alu instid0(VALU_DEP_1) | instskip(SKIP_1) | instid1(VALU_DEP_1)
	v_fma_f64 v[61:62], v[61:62], v[63:64], v[61:62]
	v_div_scale_f64 v[63:64], vcc_lo, v[3:4], v[27:28], v[3:4]
	v_mul_f64 v[65:66], v[63:64], v[61:62]
	s_delay_alu instid0(VALU_DEP_1) | instskip(NEXT) | instid1(VALU_DEP_1)
	v_fma_f64 v[59:60], -v[59:60], v[65:66], v[63:64]
	v_div_fmas_f64 v[59:60], v[59:60], v[61:62], v[65:66]
	s_delay_alu instid0(VALU_DEP_1)
	v_div_fixup_f64 v[3:4], v[59:60], v[27:28], v[3:4]
.LBB0_42:                               ;   in Loop: Header=BB0_24 Depth=1
	s_and_not1_b32 vcc_lo, exec_lo, s24
	s_cbranch_vccnz .LBB0_44
; %bb.43:                               ;   in Loop: Header=BB0_24 Depth=1
	s_load_b32 s22, s[12:13], 0x0
	s_waitcnt lgkmcnt(0)
	v_cvt_f64_f32_e32 v[27:28], s22
	s_waitcnt vmcnt(0)
	s_delay_alu instid0(VALU_DEP_1) | instskip(NEXT) | instid1(VALU_DEP_1)
	v_div_scale_f64 v[59:60], null, v[27:28], v[27:28], v[5:6]
	v_rcp_f64_e32 v[61:62], v[59:60]
	s_waitcnt_depctr 0xfff
	v_fma_f64 v[63:64], -v[59:60], v[61:62], 1.0
	s_delay_alu instid0(VALU_DEP_1) | instskip(NEXT) | instid1(VALU_DEP_1)
	v_fma_f64 v[61:62], v[61:62], v[63:64], v[61:62]
	v_fma_f64 v[63:64], -v[59:60], v[61:62], 1.0
	s_delay_alu instid0(VALU_DEP_1) | instskip(SKIP_1) | instid1(VALU_DEP_1)
	v_fma_f64 v[61:62], v[61:62], v[63:64], v[61:62]
	v_div_scale_f64 v[63:64], vcc_lo, v[5:6], v[27:28], v[5:6]
	v_mul_f64 v[65:66], v[63:64], v[61:62]
	s_delay_alu instid0(VALU_DEP_1) | instskip(NEXT) | instid1(VALU_DEP_1)
	v_fma_f64 v[59:60], -v[59:60], v[65:66], v[63:64]
	v_div_fmas_f64 v[59:60], v[59:60], v[61:62], v[65:66]
	s_delay_alu instid0(VALU_DEP_1)
	v_div_fixup_f64 v[5:6], v[59:60], v[27:28], v[5:6]
.LBB0_44:                               ;   in Loop: Header=BB0_24 Depth=1
	;; [unrolled: 25-line block ×3, first 2 shown]
	s_waitcnt vmcnt(0)
	s_delay_alu instid0(VALU_DEP_1) | instskip(NEXT) | instid1(VALU_DEP_2)
	v_xor_b32_e32 v28, 0x80000000, v2
	v_cndmask_b32_e64 v27, v1, v1, s2
	s_delay_alu instid0(VALU_DEP_2) | instskip(NEXT) | instid1(VALU_DEP_1)
	v_cndmask_b32_e64 v28, v2, v28, s2
	v_fma_f64 v[59:60], v[17:18], s[10:11], v[27:28]
	s_delay_alu instid0(VALU_DEP_1) | instskip(NEXT) | instid1(VALU_DEP_2)
	v_cndmask_b32_e64 v28, v28, v60, s0
	v_cndmask_b32_e64 v27, v27, v59, s0
	s_delay_alu instid0(VALU_DEP_1)
	v_fma_f64 v[21:22], v[27:28], v[27:28], v[21:22]
	s_and_saveexec_b32 s22, s1
	s_cbranch_execz .LBB0_48
; %bb.47:                               ;   in Loop: Header=BB0_24 Depth=1
	s_delay_alu instid0(VALU_DEP_1) | instskip(SKIP_2) | instid1(VALU_DEP_1)
	v_cmp_gt_f64_e32 vcc_lo, 0x10000000, v[21:22]
	v_mul_f64 v[27:28], v[25:26], v[27:28]
	v_cndmask_b32_e64 v59, 0, 1, vcc_lo
	v_lshlrev_b32_e32 v59, 8, v59
	s_delay_alu instid0(VALU_DEP_1) | instskip(NEXT) | instid1(VALU_DEP_1)
	v_ldexp_f64 v[59:60], v[21:22], v59
	v_rsq_f64_e32 v[61:62], v[59:60]
	s_waitcnt_depctr 0xfff
	v_mul_f64 v[63:64], v[59:60], v[61:62]
	v_mul_f64 v[61:62], v[61:62], 0.5
	s_delay_alu instid0(VALU_DEP_1) | instskip(NEXT) | instid1(VALU_DEP_1)
	v_fma_f64 v[65:66], -v[61:62], v[63:64], 0.5
	v_fma_f64 v[63:64], v[63:64], v[65:66], v[63:64]
	v_fma_f64 v[61:62], v[61:62], v[65:66], v[61:62]
	s_delay_alu instid0(VALU_DEP_2) | instskip(NEXT) | instid1(VALU_DEP_1)
	v_fma_f64 v[65:66], -v[63:64], v[63:64], v[59:60]
	v_fma_f64 v[63:64], v[65:66], v[61:62], v[63:64]
	s_delay_alu instid0(VALU_DEP_1) | instskip(NEXT) | instid1(VALU_DEP_1)
	v_fma_f64 v[65:66], -v[63:64], v[63:64], v[59:60]
	v_fma_f64 v[61:62], v[65:66], v[61:62], v[63:64]
	v_cndmask_b32_e64 v63, 0, 0xffffff80, vcc_lo
	v_cmp_class_f64_e64 vcc_lo, v[59:60], 0x260
	s_delay_alu instid0(VALU_DEP_2) | instskip(NEXT) | instid1(VALU_DEP_1)
	v_ldexp_f64 v[61:62], v[61:62], v63
	v_dual_cndmask_b32 v60, v62, v60 :: v_dual_cndmask_b32 v59, v61, v59
	s_delay_alu instid0(VALU_DEP_1) | instskip(NEXT) | instid1(VALU_DEP_1)
	v_add_f64 v[59:60], v[59:60], s[16:17]
	v_div_scale_f64 v[61:62], null, v[59:60], v[59:60], v[27:28]
	s_delay_alu instid0(VALU_DEP_1) | instskip(SKIP_2) | instid1(VALU_DEP_1)
	v_rcp_f64_e32 v[63:64], v[61:62]
	s_waitcnt_depctr 0xfff
	v_fma_f64 v[65:66], -v[61:62], v[63:64], 1.0
	v_fma_f64 v[63:64], v[63:64], v[65:66], v[63:64]
	s_delay_alu instid0(VALU_DEP_1) | instskip(NEXT) | instid1(VALU_DEP_1)
	v_fma_f64 v[65:66], -v[61:62], v[63:64], 1.0
	v_fma_f64 v[63:64], v[63:64], v[65:66], v[63:64]
	v_div_scale_f64 v[65:66], vcc_lo, v[27:28], v[59:60], v[27:28]
	s_delay_alu instid0(VALU_DEP_1) | instskip(NEXT) | instid1(VALU_DEP_1)
	v_mul_f64 v[67:68], v[65:66], v[63:64]
	v_fma_f64 v[61:62], -v[61:62], v[67:68], v[65:66]
	s_delay_alu instid0(VALU_DEP_1) | instskip(NEXT) | instid1(VALU_DEP_1)
	v_div_fmas_f64 v[61:62], v[61:62], v[63:64], v[67:68]
	v_div_fixup_f64 v[27:28], v[61:62], v[59:60], v[27:28]
	s_delay_alu instid0(VALU_DEP_1)
	v_add_f64 v[17:18], v[17:18], -v[27:28]
	v_add_co_u32 v27, vcc_lo, v29, s14
	v_add_co_ci_u32_e32 v28, vcc_lo, s15, v30, vcc_lo
	global_store_b64 v[27:28], v[17:18], off
.LBB0_48:                               ;   in Loop: Header=BB0_24 Depth=1
	s_or_b32 exec_lo, exec_lo, s22
	v_xor_b32_e32 v18, 0x80000000, v4
	v_cndmask_b32_e64 v17, v3, v3, s2
	s_delay_alu instid0(VALU_DEP_2) | instskip(NEXT) | instid1(VALU_DEP_1)
	v_cndmask_b32_e64 v18, v4, v18, s2
	v_fma_f64 v[27:28], v[13:14], s[10:11], v[17:18]
	s_delay_alu instid0(VALU_DEP_1) | instskip(NEXT) | instid1(VALU_DEP_2)
	v_cndmask_b32_e64 v28, v18, v28, s0
	v_cndmask_b32_e64 v27, v17, v27, s0
	s_delay_alu instid0(VALU_DEP_1)
	v_fma_f64 v[17:18], v[27:28], v[27:28], v[23:24]
	s_and_saveexec_b32 s22, s3
	s_cbranch_execz .LBB0_50
; %bb.49:                               ;   in Loop: Header=BB0_24 Depth=1
	s_delay_alu instid0(VALU_DEP_1) | instskip(SKIP_2) | instid1(VALU_DEP_1)
	v_cmp_gt_f64_e32 vcc_lo, 0x10000000, v[17:18]
	v_mul_f64 v[27:28], v[25:26], v[27:28]
	v_cndmask_b32_e64 v23, 0, 1, vcc_lo
	v_lshlrev_b32_e32 v23, 8, v23
	s_delay_alu instid0(VALU_DEP_1) | instskip(NEXT) | instid1(VALU_DEP_1)
	v_ldexp_f64 v[23:24], v[17:18], v23
	v_rsq_f64_e32 v[59:60], v[23:24]
	s_waitcnt_depctr 0xfff
	v_mul_f64 v[61:62], v[23:24], v[59:60]
	v_mul_f64 v[59:60], v[59:60], 0.5
	s_delay_alu instid0(VALU_DEP_1) | instskip(NEXT) | instid1(VALU_DEP_1)
	v_fma_f64 v[63:64], -v[59:60], v[61:62], 0.5
	v_fma_f64 v[61:62], v[61:62], v[63:64], v[61:62]
	v_fma_f64 v[59:60], v[59:60], v[63:64], v[59:60]
	s_delay_alu instid0(VALU_DEP_2) | instskip(NEXT) | instid1(VALU_DEP_1)
	v_fma_f64 v[63:64], -v[61:62], v[61:62], v[23:24]
	v_fma_f64 v[61:62], v[63:64], v[59:60], v[61:62]
	s_delay_alu instid0(VALU_DEP_1) | instskip(NEXT) | instid1(VALU_DEP_1)
	v_fma_f64 v[63:64], -v[61:62], v[61:62], v[23:24]
	v_fma_f64 v[59:60], v[63:64], v[59:60], v[61:62]
	v_cndmask_b32_e64 v61, 0, 0xffffff80, vcc_lo
	v_cmp_class_f64_e64 vcc_lo, v[23:24], 0x260
	s_delay_alu instid0(VALU_DEP_2) | instskip(NEXT) | instid1(VALU_DEP_1)
	v_ldexp_f64 v[59:60], v[59:60], v61
	v_dual_cndmask_b32 v24, v60, v24 :: v_dual_cndmask_b32 v23, v59, v23
	s_delay_alu instid0(VALU_DEP_1) | instskip(NEXT) | instid1(VALU_DEP_1)
	v_add_f64 v[23:24], v[23:24], s[16:17]
	v_div_scale_f64 v[59:60], null, v[23:24], v[23:24], v[27:28]
	s_delay_alu instid0(VALU_DEP_1) | instskip(SKIP_2) | instid1(VALU_DEP_1)
	v_rcp_f64_e32 v[61:62], v[59:60]
	s_waitcnt_depctr 0xfff
	v_fma_f64 v[63:64], -v[59:60], v[61:62], 1.0
	v_fma_f64 v[61:62], v[61:62], v[63:64], v[61:62]
	s_delay_alu instid0(VALU_DEP_1) | instskip(NEXT) | instid1(VALU_DEP_1)
	v_fma_f64 v[63:64], -v[59:60], v[61:62], 1.0
	v_fma_f64 v[61:62], v[61:62], v[63:64], v[61:62]
	v_div_scale_f64 v[63:64], vcc_lo, v[27:28], v[23:24], v[27:28]
	s_delay_alu instid0(VALU_DEP_1) | instskip(NEXT) | instid1(VALU_DEP_1)
	v_mul_f64 v[65:66], v[63:64], v[61:62]
	v_fma_f64 v[59:60], -v[59:60], v[65:66], v[63:64]
	s_delay_alu instid0(VALU_DEP_1) | instskip(NEXT) | instid1(VALU_DEP_1)
	v_div_fmas_f64 v[59:60], v[59:60], v[61:62], v[65:66]
	v_div_fixup_f64 v[23:24], v[59:60], v[23:24], v[27:28]
	s_delay_alu instid0(VALU_DEP_1)
	v_add_f64 v[13:14], v[13:14], -v[23:24]
	v_add_co_u32 v23, vcc_lo, v53, s14
	v_add_co_ci_u32_e32 v24, vcc_lo, s15, v54, vcc_lo
	global_store_b64 v[23:24], v[13:14], off
.LBB0_50:                               ;   in Loop: Header=BB0_24 Depth=1
	s_or_b32 exec_lo, exec_lo, s22
	v_xor_b32_e32 v14, 0x80000000, v6
	v_cndmask_b32_e64 v13, v5, v5, s2
	s_delay_alu instid0(VALU_DEP_2) | instskip(NEXT) | instid1(VALU_DEP_1)
	v_cndmask_b32_e64 v14, v6, v14, s2
	v_fma_f64 v[23:24], v[11:12], s[10:11], v[13:14]
	s_delay_alu instid0(VALU_DEP_1) | instskip(NEXT) | instid1(VALU_DEP_2)
	v_cndmask_b32_e64 v24, v14, v24, s0
	v_cndmask_b32_e64 v23, v13, v23, s0
	s_delay_alu instid0(VALU_DEP_1)
	v_fma_f64 v[13:14], v[23:24], v[23:24], v[19:20]
	s_and_saveexec_b32 s22, s4
	s_cbranch_execz .LBB0_52
; %bb.51:                               ;   in Loop: Header=BB0_24 Depth=1
	s_delay_alu instid0(VALU_DEP_1) | instskip(SKIP_2) | instid1(VALU_DEP_1)
	v_cmp_gt_f64_e32 vcc_lo, 0x10000000, v[13:14]
	v_mul_f64 v[23:24], v[25:26], v[23:24]
	v_cndmask_b32_e64 v19, 0, 1, vcc_lo
	v_lshlrev_b32_e32 v19, 8, v19
	s_delay_alu instid0(VALU_DEP_1) | instskip(NEXT) | instid1(VALU_DEP_1)
	v_ldexp_f64 v[19:20], v[13:14], v19
	v_rsq_f64_e32 v[27:28], v[19:20]
	s_waitcnt_depctr 0xfff
	v_mul_f64 v[59:60], v[19:20], v[27:28]
	v_mul_f64 v[27:28], v[27:28], 0.5
	s_delay_alu instid0(VALU_DEP_1) | instskip(NEXT) | instid1(VALU_DEP_1)
	v_fma_f64 v[61:62], -v[27:28], v[59:60], 0.5
	v_fma_f64 v[59:60], v[59:60], v[61:62], v[59:60]
	v_fma_f64 v[27:28], v[27:28], v[61:62], v[27:28]
	s_delay_alu instid0(VALU_DEP_2) | instskip(NEXT) | instid1(VALU_DEP_1)
	v_fma_f64 v[61:62], -v[59:60], v[59:60], v[19:20]
	v_fma_f64 v[59:60], v[61:62], v[27:28], v[59:60]
	s_delay_alu instid0(VALU_DEP_1) | instskip(NEXT) | instid1(VALU_DEP_1)
	v_fma_f64 v[61:62], -v[59:60], v[59:60], v[19:20]
	v_fma_f64 v[27:28], v[61:62], v[27:28], v[59:60]
	v_cndmask_b32_e64 v59, 0, 0xffffff80, vcc_lo
	v_cmp_class_f64_e64 vcc_lo, v[19:20], 0x260
	s_delay_alu instid0(VALU_DEP_2) | instskip(NEXT) | instid1(VALU_DEP_1)
	v_ldexp_f64 v[27:28], v[27:28], v59
	v_dual_cndmask_b32 v20, v28, v20 :: v_dual_cndmask_b32 v19, v27, v19
	s_delay_alu instid0(VALU_DEP_1) | instskip(NEXT) | instid1(VALU_DEP_1)
	v_add_f64 v[19:20], v[19:20], s[16:17]
	v_div_scale_f64 v[27:28], null, v[19:20], v[19:20], v[23:24]
	s_delay_alu instid0(VALU_DEP_1) | instskip(SKIP_2) | instid1(VALU_DEP_1)
	v_rcp_f64_e32 v[59:60], v[27:28]
	s_waitcnt_depctr 0xfff
	v_fma_f64 v[61:62], -v[27:28], v[59:60], 1.0
	v_fma_f64 v[59:60], v[59:60], v[61:62], v[59:60]
	s_delay_alu instid0(VALU_DEP_1) | instskip(NEXT) | instid1(VALU_DEP_1)
	v_fma_f64 v[61:62], -v[27:28], v[59:60], 1.0
	v_fma_f64 v[59:60], v[59:60], v[61:62], v[59:60]
	v_div_scale_f64 v[61:62], vcc_lo, v[23:24], v[19:20], v[23:24]
	s_delay_alu instid0(VALU_DEP_1) | instskip(NEXT) | instid1(VALU_DEP_1)
	v_mul_f64 v[63:64], v[61:62], v[59:60]
	v_fma_f64 v[27:28], -v[27:28], v[63:64], v[61:62]
	s_delay_alu instid0(VALU_DEP_1) | instskip(NEXT) | instid1(VALU_DEP_1)
	v_div_fmas_f64 v[27:28], v[27:28], v[59:60], v[63:64]
	v_div_fixup_f64 v[19:20], v[27:28], v[19:20], v[23:24]
	s_delay_alu instid0(VALU_DEP_1)
	v_add_f64 v[11:12], v[11:12], -v[19:20]
	v_add_co_u32 v19, vcc_lo, v43, s14
	v_add_co_ci_u32_e32 v20, vcc_lo, s15, v44, vcc_lo
	global_store_b64 v[19:20], v[11:12], off
.LBB0_52:                               ;   in Loop: Header=BB0_24 Depth=1
	s_or_b32 exec_lo, exec_lo, s22
	v_xor_b32_e32 v12, 0x80000000, v8
	v_cndmask_b32_e64 v11, v7, v7, s2
	s_delay_alu instid0(VALU_DEP_2) | instskip(NEXT) | instid1(VALU_DEP_1)
	v_cndmask_b32_e64 v12, v8, v12, s2
	v_fma_f64 v[19:20], v[9:10], s[10:11], v[11:12]
	s_delay_alu instid0(VALU_DEP_1) | instskip(NEXT) | instid1(VALU_DEP_2)
	v_cndmask_b32_e64 v20, v12, v20, s0
	v_cndmask_b32_e64 v19, v11, v19, s0
	s_delay_alu instid0(VALU_DEP_1)
	v_fma_f64 v[11:12], v[19:20], v[19:20], v[15:16]
	s_and_saveexec_b32 s22, s5
	s_cbranch_execz .LBB0_54
; %bb.53:                               ;   in Loop: Header=BB0_24 Depth=1
	s_delay_alu instid0(VALU_DEP_1) | instskip(SKIP_2) | instid1(VALU_DEP_1)
	v_cmp_gt_f64_e32 vcc_lo, 0x10000000, v[11:12]
	v_mul_f64 v[19:20], v[25:26], v[19:20]
	v_cndmask_b32_e64 v15, 0, 1, vcc_lo
	v_lshlrev_b32_e32 v15, 8, v15
	s_delay_alu instid0(VALU_DEP_1) | instskip(NEXT) | instid1(VALU_DEP_1)
	v_ldexp_f64 v[15:16], v[11:12], v15
	v_rsq_f64_e32 v[23:24], v[15:16]
	s_waitcnt_depctr 0xfff
	v_mul_f64 v[27:28], v[15:16], v[23:24]
	v_mul_f64 v[23:24], v[23:24], 0.5
	s_delay_alu instid0(VALU_DEP_1) | instskip(NEXT) | instid1(VALU_DEP_1)
	v_fma_f64 v[59:60], -v[23:24], v[27:28], 0.5
	v_fma_f64 v[27:28], v[27:28], v[59:60], v[27:28]
	v_fma_f64 v[23:24], v[23:24], v[59:60], v[23:24]
	s_delay_alu instid0(VALU_DEP_2) | instskip(NEXT) | instid1(VALU_DEP_1)
	v_fma_f64 v[59:60], -v[27:28], v[27:28], v[15:16]
	v_fma_f64 v[27:28], v[59:60], v[23:24], v[27:28]
	s_delay_alu instid0(VALU_DEP_1) | instskip(NEXT) | instid1(VALU_DEP_1)
	v_fma_f64 v[59:60], -v[27:28], v[27:28], v[15:16]
	v_fma_f64 v[23:24], v[59:60], v[23:24], v[27:28]
	v_cndmask_b32_e64 v27, 0, 0xffffff80, vcc_lo
	v_cmp_class_f64_e64 vcc_lo, v[15:16], 0x260
	s_delay_alu instid0(VALU_DEP_2) | instskip(NEXT) | instid1(VALU_DEP_1)
	v_ldexp_f64 v[23:24], v[23:24], v27
	v_dual_cndmask_b32 v16, v24, v16 :: v_dual_cndmask_b32 v15, v23, v15
	s_delay_alu instid0(VALU_DEP_1) | instskip(NEXT) | instid1(VALU_DEP_1)
	v_add_f64 v[15:16], v[15:16], s[16:17]
	v_div_scale_f64 v[23:24], null, v[15:16], v[15:16], v[19:20]
	s_delay_alu instid0(VALU_DEP_1) | instskip(SKIP_2) | instid1(VALU_DEP_1)
	v_rcp_f64_e32 v[27:28], v[23:24]
	s_waitcnt_depctr 0xfff
	v_fma_f64 v[59:60], -v[23:24], v[27:28], 1.0
	v_fma_f64 v[27:28], v[27:28], v[59:60], v[27:28]
	s_delay_alu instid0(VALU_DEP_1) | instskip(NEXT) | instid1(VALU_DEP_1)
	v_fma_f64 v[59:60], -v[23:24], v[27:28], 1.0
	v_fma_f64 v[27:28], v[27:28], v[59:60], v[27:28]
	v_div_scale_f64 v[59:60], vcc_lo, v[19:20], v[15:16], v[19:20]
	s_delay_alu instid0(VALU_DEP_1) | instskip(NEXT) | instid1(VALU_DEP_1)
	v_mul_f64 v[61:62], v[59:60], v[27:28]
	v_fma_f64 v[23:24], -v[23:24], v[61:62], v[59:60]
	s_delay_alu instid0(VALU_DEP_1) | instskip(NEXT) | instid1(VALU_DEP_1)
	v_div_fmas_f64 v[23:24], v[23:24], v[27:28], v[61:62]
	v_div_fixup_f64 v[15:16], v[23:24], v[15:16], v[19:20]
	s_delay_alu instid0(VALU_DEP_1)
	v_add_f64 v[9:10], v[9:10], -v[15:16]
	v_add_co_u32 v15, vcc_lo, v35, s14
	v_add_co_ci_u32_e32 v16, vcc_lo, s15, v36, vcc_lo
	global_store_b64 v[15:16], v[9:10], off
.LBB0_54:                               ;   in Loop: Header=BB0_24 Depth=1
	s_or_b32 exec_lo, exec_lo, s22
	s_delay_alu instid0(SALU_CYCLE_1)
	s_and_not1_b32 vcc_lo, exec_lo, s24
	s_cbranch_vccnz .LBB0_61
; %bb.55:                               ;   in Loop: Header=BB0_24 Depth=1
	s_and_saveexec_b32 s22, s1
	s_cbranch_execnz .LBB0_71
; %bb.56:                               ;   in Loop: Header=BB0_24 Depth=1
	s_or_b32 exec_lo, exec_lo, s22
	s_and_saveexec_b32 s22, s3
	s_cbranch_execnz .LBB0_72
.LBB0_57:                               ;   in Loop: Header=BB0_24 Depth=1
	s_or_b32 exec_lo, exec_lo, s22
	s_and_saveexec_b32 s22, s4
	s_cbranch_execnz .LBB0_73
.LBB0_58:                               ;   in Loop: Header=BB0_24 Depth=1
	s_or_b32 exec_lo, exec_lo, s22
	s_and_saveexec_b32 s22, s5
	s_cbranch_execz .LBB0_60
.LBB0_59:                               ;   in Loop: Header=BB0_24 Depth=1
	v_add_co_u32 v1, vcc_lo, v37, s14
	v_add_co_ci_u32_e32 v2, vcc_lo, s15, v38, vcc_lo
	global_store_b64 v[1:2], v[7:8], off
.LBB0_60:                               ;   in Loop: Header=BB0_24 Depth=1
	s_or_b32 exec_lo, exec_lo, s22
.LBB0_61:                               ;   in Loop: Header=BB0_24 Depth=1
	s_and_saveexec_b32 s22, s1
	s_cbranch_execnz .LBB0_67
; %bb.62:                               ;   in Loop: Header=BB0_24 Depth=1
	s_or_b32 exec_lo, exec_lo, s22
	s_and_saveexec_b32 s1, s3
	s_cbranch_execnz .LBB0_68
.LBB0_63:                               ;   in Loop: Header=BB0_24 Depth=1
	s_or_b32 exec_lo, exec_lo, s1
	s_and_saveexec_b32 s1, s4
	s_cbranch_execnz .LBB0_69
.LBB0_64:                               ;   in Loop: Header=BB0_24 Depth=1
	s_or_b32 exec_lo, exec_lo, s1
	s_and_saveexec_b32 s1, s5
	s_cbranch_execz .LBB0_23
	s_branch .LBB0_70
.LBB0_65:                               ;   in Loop: Header=BB0_24 Depth=1
	v_add_co_u32 v7, vcc_lo, v35, s14
	v_add_co_ci_u32_e32 v8, vcc_lo, s15, v36, vcc_lo
	v_add_co_u32 v27, vcc_lo, v37, s14
	v_add_co_ci_u32_e32 v28, vcc_lo, s15, v38, vcc_lo
	global_load_b64 v[9:10], v[7:8], off
	global_load_b64 v[7:8], v[27:28], off
	s_or_b32 exec_lo, exec_lo, s22
	s_and_saveexec_b32 s22, s5
	s_cbranch_execz .LBB0_38
.LBB0_66:                               ;   in Loop: Header=BB0_24 Depth=1
	v_add_co_u32 v15, vcc_lo, v39, s14
	v_add_co_ci_u32_e32 v16, vcc_lo, s15, v40, vcc_lo
	global_load_b64 v[15:16], v[15:16], off
	s_or_b32 exec_lo, exec_lo, s22
	s_delay_alu instid0(SALU_CYCLE_1)
	s_and_not1_b32 vcc_lo, exec_lo, s24
	s_cbranch_vccz .LBB0_39
	s_branch .LBB0_40
.LBB0_67:                               ;   in Loop: Header=BB0_24 Depth=1
	v_add_co_u32 v1, vcc_lo, v33, s14
	v_add_co_ci_u32_e32 v2, vcc_lo, s15, v34, vcc_lo
	global_store_b64 v[1:2], v[21:22], off
	s_or_b32 exec_lo, exec_lo, s22
	s_and_saveexec_b32 s1, s3
	s_cbranch_execz .LBB0_63
.LBB0_68:                               ;   in Loop: Header=BB0_24 Depth=1
	v_add_co_u32 v1, vcc_lo, v57, s14
	v_add_co_ci_u32_e32 v2, vcc_lo, s15, v58, vcc_lo
	global_store_b64 v[1:2], v[17:18], off
	s_or_b32 exec_lo, exec_lo, s1
	s_and_saveexec_b32 s1, s4
	s_cbranch_execz .LBB0_64
.LBB0_69:                               ;   in Loop: Header=BB0_24 Depth=1
	v_add_co_u32 v1, vcc_lo, v48, s14
	v_add_co_ci_u32_e32 v2, vcc_lo, s15, v49, vcc_lo
	global_store_b64 v[1:2], v[13:14], off
	s_or_b32 exec_lo, exec_lo, s1
	s_and_saveexec_b32 s1, s5
	s_cbranch_execz .LBB0_23
.LBB0_70:                               ;   in Loop: Header=BB0_24 Depth=1
	v_add_co_u32 v1, vcc_lo, v39, s14
	v_add_co_ci_u32_e32 v2, vcc_lo, s15, v40, vcc_lo
	global_store_b64 v[1:2], v[11:12], off
	s_branch .LBB0_23
.LBB0_71:                               ;   in Loop: Header=BB0_24 Depth=1
	v_add_co_u32 v9, vcc_lo, v31, s14
	v_add_co_ci_u32_e32 v10, vcc_lo, s15, v32, vcc_lo
	global_store_b64 v[9:10], v[1:2], off
	s_or_b32 exec_lo, exec_lo, s22
	s_and_saveexec_b32 s22, s3
	s_cbranch_execz .LBB0_57
.LBB0_72:                               ;   in Loop: Header=BB0_24 Depth=1
	v_add_co_u32 v1, vcc_lo, v55, s14
	v_add_co_ci_u32_e32 v2, vcc_lo, s15, v56, vcc_lo
	global_store_b64 v[1:2], v[3:4], off
	s_or_b32 exec_lo, exec_lo, s22
	s_and_saveexec_b32 s22, s4
	s_cbranch_execz .LBB0_58
.LBB0_73:                               ;   in Loop: Header=BB0_24 Depth=1
	v_add_co_u32 v1, vcc_lo, v45, s14
	v_add_co_ci_u32_e32 v2, vcc_lo, s15, v46, vcc_lo
	global_store_b64 v[1:2], v[5:6], off
	s_or_b32 exec_lo, exec_lo, s22
	s_and_saveexec_b32 s22, s5
	s_cbranch_execnz .LBB0_59
	s_branch .LBB0_60
.LBB0_74:
	s_nop 0
	s_sendmsg sendmsg(MSG_DEALLOC_VGPRS)
	s_endpgm
	.section	.rodata,"a",@progbits
	.p2align	6, 0x0
	.amdhsa_kernel _ZN2at6native12_GLOBAL__N_125multi_tensor_apply_kernelINS1_32FusedOptimizerTensorListMetadataILi3EEENS1_23FusedAdagradMathFunctorIdEEJPKfddddbS8_S8_EEEvT_T0_DpT1_
		.amdhsa_group_segment_fixed_size 0
		.amdhsa_private_segment_fixed_size 0
		.amdhsa_kernarg_size 3856
		.amdhsa_user_sgpr_count 15
		.amdhsa_user_sgpr_dispatch_ptr 0
		.amdhsa_user_sgpr_queue_ptr 0
		.amdhsa_user_sgpr_kernarg_segment_ptr 1
		.amdhsa_user_sgpr_dispatch_id 0
		.amdhsa_user_sgpr_private_segment_size 0
		.amdhsa_wavefront_size32 1
		.amdhsa_uses_dynamic_stack 0
		.amdhsa_enable_private_segment 0
		.amdhsa_system_sgpr_workgroup_id_x 1
		.amdhsa_system_sgpr_workgroup_id_y 0
		.amdhsa_system_sgpr_workgroup_id_z 0
		.amdhsa_system_sgpr_workgroup_info 0
		.amdhsa_system_vgpr_workitem_id 0
		.amdhsa_next_free_vgpr 86
		.amdhsa_next_free_sgpr 35
		.amdhsa_reserve_vcc 1
		.amdhsa_float_round_mode_32 0
		.amdhsa_float_round_mode_16_64 0
		.amdhsa_float_denorm_mode_32 3
		.amdhsa_float_denorm_mode_16_64 3
		.amdhsa_dx10_clamp 1
		.amdhsa_ieee_mode 1
		.amdhsa_fp16_overflow 0
		.amdhsa_workgroup_processor_mode 1
		.amdhsa_memory_ordered 1
		.amdhsa_forward_progress 0
		.amdhsa_shared_vgpr_count 0
		.amdhsa_exception_fp_ieee_invalid_op 0
		.amdhsa_exception_fp_denorm_src 0
		.amdhsa_exception_fp_ieee_div_zero 0
		.amdhsa_exception_fp_ieee_overflow 0
		.amdhsa_exception_fp_ieee_underflow 0
		.amdhsa_exception_fp_ieee_inexact 0
		.amdhsa_exception_int_div_zero 0
	.end_amdhsa_kernel
	.section	.text._ZN2at6native12_GLOBAL__N_125multi_tensor_apply_kernelINS1_32FusedOptimizerTensorListMetadataILi3EEENS1_23FusedAdagradMathFunctorIdEEJPKfddddbS8_S8_EEEvT_T0_DpT1_,"axG",@progbits,_ZN2at6native12_GLOBAL__N_125multi_tensor_apply_kernelINS1_32FusedOptimizerTensorListMetadataILi3EEENS1_23FusedAdagradMathFunctorIdEEJPKfddddbS8_S8_EEEvT_T0_DpT1_,comdat
.Lfunc_end0:
	.size	_ZN2at6native12_GLOBAL__N_125multi_tensor_apply_kernelINS1_32FusedOptimizerTensorListMetadataILi3EEENS1_23FusedAdagradMathFunctorIdEEJPKfddddbS8_S8_EEEvT_T0_DpT1_, .Lfunc_end0-_ZN2at6native12_GLOBAL__N_125multi_tensor_apply_kernelINS1_32FusedOptimizerTensorListMetadataILi3EEENS1_23FusedAdagradMathFunctorIdEEJPKfddddbS8_S8_EEEvT_T0_DpT1_
                                        ; -- End function
	.section	.AMDGPU.csdata,"",@progbits
; Kernel info:
; codeLenInByte = 6568
; NumSgprs: 37
; NumVgprs: 86
; ScratchSize: 0
; MemoryBound: 1
; FloatMode: 240
; IeeeMode: 1
; LDSByteSize: 0 bytes/workgroup (compile time only)
; SGPRBlocks: 4
; VGPRBlocks: 10
; NumSGPRsForWavesPerEU: 37
; NumVGPRsForWavesPerEU: 86
; Occupancy: 16
; WaveLimiterHint : 0
; COMPUTE_PGM_RSRC2:SCRATCH_EN: 0
; COMPUTE_PGM_RSRC2:USER_SGPR: 15
; COMPUTE_PGM_RSRC2:TRAP_HANDLER: 0
; COMPUTE_PGM_RSRC2:TGID_X_EN: 1
; COMPUTE_PGM_RSRC2:TGID_Y_EN: 0
; COMPUTE_PGM_RSRC2:TGID_Z_EN: 0
; COMPUTE_PGM_RSRC2:TIDIG_COMP_CNT: 0
	.section	.text._ZN2at6native12_GLOBAL__N_125multi_tensor_apply_kernelINS1_32FusedOptimizerTensorListMetadataILi3EEENS1_23FusedAdagradMathFunctorIfEEJPKfddddbS8_S8_EEEvT_T0_DpT1_,"axG",@progbits,_ZN2at6native12_GLOBAL__N_125multi_tensor_apply_kernelINS1_32FusedOptimizerTensorListMetadataILi3EEENS1_23FusedAdagradMathFunctorIfEEJPKfddddbS8_S8_EEEvT_T0_DpT1_,comdat
	.globl	_ZN2at6native12_GLOBAL__N_125multi_tensor_apply_kernelINS1_32FusedOptimizerTensorListMetadataILi3EEENS1_23FusedAdagradMathFunctorIfEEJPKfddddbS8_S8_EEEvT_T0_DpT1_ ; -- Begin function _ZN2at6native12_GLOBAL__N_125multi_tensor_apply_kernelINS1_32FusedOptimizerTensorListMetadataILi3EEENS1_23FusedAdagradMathFunctorIfEEJPKfddddbS8_S8_EEEvT_T0_DpT1_
	.p2align	8
	.type	_ZN2at6native12_GLOBAL__N_125multi_tensor_apply_kernelINS1_32FusedOptimizerTensorListMetadataILi3EEENS1_23FusedAdagradMathFunctorIfEEJPKfddddbS8_S8_EEEvT_T0_DpT1_,@function
_ZN2at6native12_GLOBAL__N_125multi_tensor_apply_kernelINS1_32FusedOptimizerTensorListMetadataILi3EEENS1_23FusedAdagradMathFunctorIfEEJPKfddddbS8_S8_EEEvT_T0_DpT1_: ; @_ZN2at6native12_GLOBAL__N_125multi_tensor_apply_kernelINS1_32FusedOptimizerTensorListMetadataILi3EEENS1_23FusedAdagradMathFunctorIfEEJPKfddddbS8_S8_EEEvT_T0_DpT1_
; %bb.0:
	s_load_b256 s[4:11], s[0:1], 0xdd0
	v_mov_b32_e32 v1, s15
	s_add_u32 s2, s0, s15
	s_mul_hi_u32 s3, s15, 3
	s_mul_i32 s15, s15, 3
	s_addc_u32 s12, s1, 0
	global_load_u8 v1, v1, s[0:1] offset:1920
	s_add_u32 s2, s2, s15
	s_addc_u32 s3, s12, s3
	s_waitcnt lgkmcnt(0)
	s_cmp_eq_u64 s[4:5], 0
	s_waitcnt vmcnt(0)
	v_readfirstlane_b32 s16, v1
	v_dual_mov_b32 v1, s6 :: v_dual_mov_b32 v2, s7
	s_cbranch_scc1 .LBB1_2
; %bb.1:
	s_load_b32 s4, s[4:5], 0x0
	s_waitcnt lgkmcnt(0)
	v_cvt_f64_f32_e32 v[1:2], s4
.LBB1_2:
	s_load_b128 s[12:15], s[0:1], 0xe00
	s_waitcnt lgkmcnt(0)
	s_cmp_eq_u64 s[14:15], 0
	s_cselect_b32 s4, -1, 0
	s_delay_alu instid0(SALU_CYCLE_1)
	s_and_b32 vcc_lo, exec_lo, s4
	s_cbranch_vccnz .LBB1_4
; %bb.3:
	s_load_b32 s4, s[14:15], 0x0
	s_waitcnt lgkmcnt(0)
	v_cmp_neq_f32_e64 s4, s4, 1.0
.LBB1_4:
	s_delay_alu instid0(VALU_DEP_1)
	s_and_not1_b32 vcc_lo, exec_lo, s4
	s_cbranch_vccnz .LBB1_74
; %bb.5:
	s_load_b32 s4, s[0:1], 0xdf8
	s_waitcnt lgkmcnt(0)
	s_bitcmp1_b32 s4, 0
	s_cselect_b32 s24, -1, 0
	s_and_b32 s4, s16, 0xff
	s_load_b64 s[16:17], s[0:1], 0xdf0
	s_lshl_b32 s6, s4, 3
	s_load_b64 s[4:5], s[0:1], s6 offset:0x600
	s_waitcnt lgkmcnt(0)
	s_load_b32 s4, s[4:5], 0x0
	s_waitcnt lgkmcnt(0)
	v_add_f32_e64 v3, s4, -1.0
	s_clause 0x4
	s_load_b32 s2, s[2:3], 0x8c0
	s_load_b64 s[4:5], s[0:1], s6 offset:0x480
	s_load_b64 s[18:19], s[0:1], s6 offset:0x0
	;; [unrolled: 1-line block ×4, first 2 shown]
	v_cvt_f64_f32_e32 v[3:4], v3
	s_waitcnt lgkmcnt(0)
	s_ashr_i32 s3, s2, 31
	s_delay_alu instid0(SALU_CYCLE_1) | instskip(NEXT) | instid1(VALU_DEP_1)
	s_lshl_b64 s[6:7], s[2:3], 16
	v_fma_f64 v[3:4], v[3:4], s[8:9], 1.0
	s_sub_u32 s8, s4, s6
	s_subb_u32 s9, s5, s7
	s_lshl_b64 s[14:15], s[2:3], 18
	s_delay_alu instid0(SALU_CYCLE_1)
	s_add_u32 s7, s18, s14
	s_addc_u32 s25, s19, s15
	s_and_b32 s2, s7, 15
	s_add_u32 s26, s20, s14
	s_addc_u32 s27, s21, s15
	s_add_u32 s28, s22, s14
	s_addc_u32 s29, s23, s15
	s_or_b32 s3, s28, s26
	s_delay_alu instid0(SALU_CYCLE_1) | instskip(NEXT) | instid1(SALU_CYCLE_1)
	s_and_b32 s3, s3, 15
	s_cmp_lg_u32 s3, 0
	s_mov_b32 s3, 0
	s_cselect_b32 s5, -1, 0
	s_and_b32 s4, s4, 3
	s_delay_alu instid0(SALU_CYCLE_1) | instskip(NEXT) | instid1(SALU_CYCLE_1)
	s_or_b32 s2, s2, s4
	s_cmp_lg_u64 s[2:3], 0
	s_cselect_b32 s2, -1, 0
	s_delay_alu instid0(SALU_CYCLE_1) | instskip(NEXT) | instid1(VALU_DEP_1)
	s_or_b32 s2, s5, s2
	v_div_scale_f64 v[5:6], null, v[3:4], v[3:4], v[1:2]
	v_div_scale_f64 v[11:12], vcc_lo, v[1:2], v[3:4], v[1:2]
	s_delay_alu instid0(VALU_DEP_2) | instskip(SKIP_2) | instid1(VALU_DEP_1)
	v_rcp_f64_e32 v[7:8], v[5:6]
	s_waitcnt_depctr 0xfff
	v_fma_f64 v[9:10], -v[5:6], v[7:8], 1.0
	v_fma_f64 v[7:8], v[7:8], v[9:10], v[7:8]
	s_delay_alu instid0(VALU_DEP_1) | instskip(NEXT) | instid1(VALU_DEP_1)
	v_fma_f64 v[9:10], -v[5:6], v[7:8], 1.0
	v_fma_f64 v[7:8], v[7:8], v[9:10], v[7:8]
	s_delay_alu instid0(VALU_DEP_1) | instskip(NEXT) | instid1(VALU_DEP_1)
	v_mul_f64 v[9:10], v[11:12], v[7:8]
	v_fma_f64 v[5:6], -v[5:6], v[9:10], v[11:12]
	s_delay_alu instid0(VALU_DEP_1) | instskip(SKIP_2) | instid1(VALU_DEP_1)
	v_div_fmas_f64 v[5:6], v[5:6], v[7:8], v[9:10]
	s_and_not1_b32 vcc_lo, exec_lo, s2
	s_mov_b32 s2, -1
	v_div_fixup_f64 v[13:14], v[5:6], v[3:4], v[1:2]
	s_cbranch_vccz .LBB1_20
; %bb.6:
	v_dual_mov_b32 v16, 0 :: v_dual_lshlrev_b32 v15, 2, v0
	s_mov_b32 s30, exec_lo
	s_delay_alu instid0(VALU_DEP_1)
	v_cmpx_gt_i64_e64 s[8:9], v[15:16]
	s_cbranch_execz .LBB1_19
; %bb.7:
	v_cmp_neq_f64_e64 s2, s[10:11], 0
	s_load_b32 s3, s[0:1], 0xe1c
	s_cmp_lg_u64 s[12:13], 0
	s_mov_b32 s33, 0
	s_cselect_b32 s31, -1, 0
	s_waitcnt lgkmcnt(0)
	s_and_b32 s3, s3, 0xffff
	s_delay_alu instid0(SALU_CYCLE_1) | instskip(SKIP_3) | instid1(VALU_DEP_2)
	v_add_lshl_u32 v15, v0, s3, 2
	v_dual_mov_b32 v18, v16 :: v_dual_lshlrev_b32 v25, 4, v0
	s_lshl_b32 s34, s3, 2
	s_lshl_b32 s35, s3, 4
	v_mov_b32_e32 v17, v15
	s_branch .LBB1_9
.LBB1_8:                                ;   in Loop: Header=BB1_9 Depth=1
	v_cmp_le_i64_e32 vcc_lo, s[8:9], v[17:18]
	v_cmp_lt_u64_e64 s3, 0xffff, v[17:18]
	global_store_b128 v[19:20], v[1:4], off
	s_or_b32 s3, vcc_lo, s3
	s_add_u32 s7, s7, s35
	s_addc_u32 s25, s25, 0
	s_add_u32 s28, s28, s35
	v_add_co_u32 v17, vcc_lo, v17, s34
	s_addc_u32 s29, s29, 0
	s_add_u32 s26, s26, s35
	v_add_co_ci_u32_e32 v18, vcc_lo, 0, v18, vcc_lo
	s_addc_u32 s27, s27, 0
	s_and_b32 s3, exec_lo, s3
	s_delay_alu instid0(SALU_CYCLE_1) | instskip(NEXT) | instid1(SALU_CYCLE_1)
	s_or_b32 s33, s3, s33
	s_and_not1_b32 exec_lo, exec_lo, s33
	s_cbranch_execz .LBB1_19
.LBB1_9:                                ; =>This Inner Loop Header: Depth=1
	v_add_co_u32 v23, s3, s7, v25
	s_delay_alu instid0(VALU_DEP_1) | instskip(SKIP_1) | instid1(VALU_DEP_1)
	v_add_co_ci_u32_e64 v24, null, s25, 0, s3
	v_add_co_u32 v21, s3, s26, v25
	v_add_co_ci_u32_e64 v22, null, s27, 0, s3
	v_add_co_u32 v19, s3, s28, v25
	s_delay_alu instid0(VALU_DEP_1)
	v_add_co_ci_u32_e64 v20, null, s29, 0, s3
	global_load_b128 v[9:12], v[23:24], off
	global_load_b128 v[5:8], v[21:22], off
	;; [unrolled: 1-line block ×3, first 2 shown]
	s_and_not1_b32 vcc_lo, exec_lo, s31
	s_cbranch_vccnz .LBB1_11
; %bb.10:                               ;   in Loop: Header=BB1_9 Depth=1
	global_load_b32 v15, v16, s[12:13]
	s_waitcnt vmcnt(0)
	v_div_scale_f32 v26, null, v15, v15, v5
	s_delay_alu instid0(VALU_DEP_1) | instskip(SKIP_2) | instid1(VALU_DEP_1)
	v_rcp_f32_e32 v27, v26
	s_waitcnt_depctr 0xfff
	v_fma_f32 v28, -v26, v27, 1.0
	v_fmac_f32_e32 v27, v28, v27
	v_div_scale_f32 v28, vcc_lo, v5, v15, v5
	s_delay_alu instid0(VALU_DEP_1) | instskip(NEXT) | instid1(VALU_DEP_1)
	v_mul_f32_e32 v29, v28, v27
	v_fma_f32 v30, -v26, v29, v28
	s_delay_alu instid0(VALU_DEP_1) | instskip(NEXT) | instid1(VALU_DEP_1)
	v_fmac_f32_e32 v29, v30, v27
	v_fma_f32 v26, -v26, v29, v28
	s_delay_alu instid0(VALU_DEP_1) | instskip(NEXT) | instid1(VALU_DEP_1)
	v_div_fmas_f32 v26, v26, v27, v29
	v_div_fixup_f32 v5, v26, v15, v5
.LBB1_11:                               ;   in Loop: Header=BB1_9 Depth=1
	s_and_not1_b32 vcc_lo, exec_lo, s31
	s_cbranch_vccnz .LBB1_13
; %bb.12:                               ;   in Loop: Header=BB1_9 Depth=1
	global_load_b32 v15, v16, s[12:13]
	s_waitcnt vmcnt(0)
	v_div_scale_f32 v26, null, v15, v15, v6
	s_delay_alu instid0(VALU_DEP_1) | instskip(SKIP_2) | instid1(VALU_DEP_1)
	v_rcp_f32_e32 v27, v26
	s_waitcnt_depctr 0xfff
	v_fma_f32 v28, -v26, v27, 1.0
	v_fmac_f32_e32 v27, v28, v27
	v_div_scale_f32 v28, vcc_lo, v6, v15, v6
	s_delay_alu instid0(VALU_DEP_1) | instskip(NEXT) | instid1(VALU_DEP_1)
	v_mul_f32_e32 v29, v28, v27
	v_fma_f32 v30, -v26, v29, v28
	s_delay_alu instid0(VALU_DEP_1) | instskip(NEXT) | instid1(VALU_DEP_1)
	v_fmac_f32_e32 v29, v30, v27
	v_fma_f32 v26, -v26, v29, v28
	s_delay_alu instid0(VALU_DEP_1) | instskip(NEXT) | instid1(VALU_DEP_1)
	v_div_fmas_f32 v26, v26, v27, v29
	v_div_fixup_f32 v6, v26, v15, v6
.LBB1_13:                               ;   in Loop: Header=BB1_9 Depth=1
	;; [unrolled: 22-line block ×4, first 2 shown]
	s_waitcnt vmcnt(1)
	v_cndmask_b32_e64 v40, v6, -v6, s24
	v_cndmask_b32_e64 v15, v7, -v7, s24
	v_cvt_f64_f32_e32 v[26:27], v11
	v_cvt_f64_f32_e32 v[10:11], v10
	v_cndmask_b32_e64 v42, v8, -v8, s24
	v_cvt_f64_f32_e32 v[30:31], v40
	v_cvt_f64_f32_e32 v[28:29], v15
	;; [unrolled: 1-line block ×3, first 2 shown]
	v_cndmask_b32_e64 v41, v5, -v5, s24
	v_cvt_f64_f32_e32 v[38:39], v42
	v_cvt_f64_f32_e32 v[32:33], v9
	s_delay_alu instid0(VALU_DEP_3) | instskip(SKIP_3) | instid1(VALU_DEP_4)
	v_cvt_f64_f32_e32 v[34:35], v41
	v_fma_f64 v[30:31], v[10:11], s[10:11], v[30:31]
	v_fma_f64 v[28:29], v[26:27], s[10:11], v[28:29]
	;; [unrolled: 1-line block ×4, first 2 shown]
	s_delay_alu instid0(VALU_DEP_4) | instskip(NEXT) | instid1(VALU_DEP_4)
	v_cvt_f32_f64_e32 v12, v[30:31]
	v_cvt_f32_f64_e32 v9, v[28:29]
	s_delay_alu instid0(VALU_DEP_4) | instskip(NEXT) | instid1(VALU_DEP_4)
	v_cvt_f32_f64_e32 v29, v[38:39]
	v_cvt_f32_f64_e32 v28, v[34:35]
	s_delay_alu instid0(VALU_DEP_4) | instskip(NEXT) | instid1(VALU_DEP_4)
	v_cndmask_b32_e64 v12, v40, v12, s2
	v_cndmask_b32_e64 v9, v15, v9, s2
	s_delay_alu instid0(VALU_DEP_4) | instskip(SKIP_1) | instid1(VALU_DEP_3)
	v_cndmask_b32_e64 v44, v42, v29, s2
	s_waitcnt vmcnt(0)
	v_fma_f32 v2, v12, v12, v2
	s_delay_alu instid0(VALU_DEP_3) | instskip(SKIP_1) | instid1(VALU_DEP_3)
	v_fma_f32 v3, v9, v9, v3
	v_cndmask_b32_e64 v15, v41, v28, s2
	v_dual_fmac_f32 v4, v44, v44 :: v_dual_mul_f32 v29, 0x4f800000, v2
	v_cmp_gt_f32_e64 s3, 0xf800000, v2
	s_delay_alu instid0(VALU_DEP_4) | instskip(NEXT) | instid1(VALU_DEP_4)
	v_mul_f32_e32 v28, 0x4f800000, v3
	v_fma_f32 v1, v15, v15, v1
	s_delay_alu instid0(VALU_DEP_4) | instskip(SKIP_4) | instid1(VALU_DEP_4)
	v_mul_f32_e32 v31, 0x4f800000, v4
	v_cmp_gt_f32_e64 s5, 0xf800000, v4
	v_cndmask_b32_e64 v35, v2, v29, s3
	v_cmp_gt_f32_e32 vcc_lo, 0xf800000, v3
	v_cmp_gt_f32_e64 s4, 0xf800000, v1
	v_cndmask_b32_e64 v40, v4, v31, s5
	s_delay_alu instid0(VALU_DEP_4)
	v_sqrt_f32_e32 v31, v35
	v_mul_f32_e32 v30, 0x4f800000, v1
	v_cndmask_b32_e32 v34, v3, v28, vcc_lo
	v_cvt_f64_f32_e32 v[28:29], v9
	v_sqrt_f32_e32 v41, v40
	s_waitcnt_depctr 0xfff
	v_add_nc_u32_e32 v43, -1, v31
	v_cndmask_b32_e64 v38, v1, v30, s4
	v_sqrt_f32_e32 v30, v34
	v_add_nc_u32_e32 v45, 1, v31
	v_add_nc_u32_e32 v48, -1, v41
	v_fma_f32 v52, -v43, v31, v35
	v_sqrt_f32_e32 v39, v38
	v_add_nc_u32_e32 v49, 1, v41
	v_fma_f32 v53, -v45, v31, v35
	v_fma_f32 v56, -v48, v41, v40
	s_delay_alu instid0(TRANS32_DEP_2) | instskip(SKIP_2) | instid1(TRANS32_DEP_1)
	v_add_nc_u32_e32 v9, -1, v30
	v_add_nc_u32_e32 v42, 1, v30
	v_fma_f32 v57, -v49, v41, v40
	v_add_nc_u32_e32 v46, -1, v39
	s_delay_alu instid0(VALU_DEP_4) | instskip(NEXT) | instid1(VALU_DEP_4)
	v_fma_f32 v50, -v9, v30, v34
	v_fma_f32 v51, -v42, v30, v34
	v_add_nc_u32_e32 v47, 1, v39
	s_delay_alu instid0(VALU_DEP_4) | instskip(NEXT) | instid1(VALU_DEP_4)
	v_fma_f32 v54, -v46, v39, v38
	v_cmp_ge_f32_e64 s6, 0, v50
	s_delay_alu instid0(VALU_DEP_3) | instskip(NEXT) | instid1(VALU_DEP_2)
	v_fma_f32 v55, -v47, v39, v38
	v_cndmask_b32_e64 v9, v30, v9, s6
	v_cmp_ge_f32_e64 s6, 0, v52
	v_mul_f64 v[28:29], v[13:14], v[28:29]
	s_delay_alu instid0(VALU_DEP_2) | instskip(SKIP_1) | instid1(VALU_DEP_1)
	v_cndmask_b32_e64 v30, v31, v43, s6
	v_cmp_ge_f32_e64 s6, 0, v54
	v_cndmask_b32_e64 v31, v39, v46, s6
	v_cmp_ge_f32_e64 s6, 0, v56
	s_delay_alu instid0(VALU_DEP_1) | instskip(SKIP_1) | instid1(VALU_DEP_1)
	v_cndmask_b32_e64 v39, v41, v48, s6
	v_cmp_lt_f32_e64 s6, 0, v51
	v_cndmask_b32_e64 v9, v9, v42, s6
	v_cmp_lt_f32_e64 s6, 0, v53
	s_delay_alu instid0(VALU_DEP_2) | instskip(NEXT) | instid1(VALU_DEP_2)
	v_mul_f32_e32 v43, 0x37800000, v9
	v_cndmask_b32_e64 v41, v30, v45, s6
	v_cmp_lt_f32_e64 s6, 0, v55
	s_delay_alu instid0(VALU_DEP_3) | instskip(NEXT) | instid1(VALU_DEP_3)
	v_cndmask_b32_e32 v9, v9, v43, vcc_lo
	v_mul_f32_e32 v45, 0x37800000, v41
	s_delay_alu instid0(VALU_DEP_3)
	v_cndmask_b32_e64 v42, v31, v47, s6
	v_cmp_lt_f32_e64 s6, 0, v57
	v_cmp_class_f32_e64 vcc_lo, v34, 0x260
	v_cvt_f64_f32_e32 v[30:31], v12
	v_cndmask_b32_e64 v41, v41, v45, s3
	v_mul_f32_e32 v12, 0x37800000, v42
	v_cndmask_b32_e64 v39, v39, v49, s6
	v_cndmask_b32_e32 v9, v9, v34, vcc_lo
	v_cmp_class_f32_e64 vcc_lo, v35, 0x260
	v_cvt_f64_f32_e32 v[44:45], v44
	v_cndmask_b32_e64 v12, v42, v12, s4
	v_mul_f32_e32 v43, 0x37800000, v39
	v_cndmask_b32_e32 v41, v41, v35, vcc_lo
	v_cmp_class_f32_e64 vcc_lo, v38, 0x260
	v_cvt_f64_f32_e32 v[34:35], v9
	s_delay_alu instid0(VALU_DEP_4) | instskip(SKIP_3) | instid1(VALU_DEP_4)
	v_cndmask_b32_e64 v42, v39, v43, s5
	v_cndmask_b32_e32 v9, v12, v38, vcc_lo
	v_cmp_class_f32_e64 vcc_lo, v40, 0x260
	v_cvt_f64_f32_e32 v[38:39], v41
	v_cndmask_b32_e32 v12, v42, v40, vcc_lo
	v_cvt_f64_f32_e32 v[40:41], v15
	v_cvt_f64_f32_e32 v[42:43], v9
	s_delay_alu instid0(VALU_DEP_3)
	v_cvt_f64_f32_e32 v[46:47], v12
	v_mul_f64 v[30:31], v[13:14], v[30:31]
	v_mul_f64 v[44:45], v[13:14], v[44:45]
	v_add_f64 v[34:35], v[34:35], s[16:17]
	v_add_f64 v[38:39], v[38:39], s[16:17]
	v_mul_f64 v[40:41], v[13:14], v[40:41]
	v_add_f64 v[42:43], v[42:43], s[16:17]
	v_add_f64 v[46:47], v[46:47], s[16:17]
	v_div_scale_f64 v[48:49], null, v[34:35], v[34:35], v[28:29]
	v_div_scale_f64 v[72:73], vcc_lo, v[28:29], v[34:35], v[28:29]
	v_div_scale_f64 v[50:51], null, v[38:39], v[38:39], v[30:31]
	v_div_scale_f64 v[52:53], null, v[42:43], v[42:43], v[40:41]
	;; [unrolled: 1-line block ×3, first 2 shown]
	v_rcp_f64_e32 v[56:57], v[48:49]
	s_delay_alu instid0(VALU_DEP_3) | instskip(NEXT) | instid1(VALU_DEP_2)
	v_rcp_f64_e32 v[58:59], v[50:51]
	v_rcp_f64_e32 v[60:61], v[52:53]
	s_delay_alu instid0(VALU_DEP_1) | instskip(SKIP_1) | instid1(TRANS32_DEP_3)
	v_rcp_f64_e32 v[62:63], v[54:55]
	v_fma_f64 v[64:65], -v[48:49], v[56:57], 1.0
	v_fma_f64 v[66:67], -v[50:51], v[58:59], 1.0
	s_waitcnt_depctr 0xfff
	v_fma_f64 v[68:69], -v[52:53], v[60:61], 1.0
	v_fma_f64 v[70:71], -v[54:55], v[62:63], 1.0
	v_fma_f64 v[56:57], v[56:57], v[64:65], v[56:57]
	v_fma_f64 v[58:59], v[58:59], v[66:67], v[58:59]
	s_delay_alu instid0(VALU_DEP_4) | instskip(NEXT) | instid1(VALU_DEP_4)
	v_fma_f64 v[60:61], v[60:61], v[68:69], v[60:61]
	v_fma_f64 v[62:63], v[62:63], v[70:71], v[62:63]
	s_delay_alu instid0(VALU_DEP_4) | instskip(NEXT) | instid1(VALU_DEP_4)
	v_fma_f64 v[64:65], -v[48:49], v[56:57], 1.0
	v_fma_f64 v[66:67], -v[50:51], v[58:59], 1.0
	s_delay_alu instid0(VALU_DEP_4) | instskip(NEXT) | instid1(VALU_DEP_4)
	v_fma_f64 v[68:69], -v[52:53], v[60:61], 1.0
	v_fma_f64 v[70:71], -v[54:55], v[62:63], 1.0
	s_delay_alu instid0(VALU_DEP_4)
	v_fma_f64 v[56:57], v[56:57], v[64:65], v[56:57]
	v_div_scale_f64 v[64:65], s3, v[30:31], v[38:39], v[30:31]
	v_fma_f64 v[58:59], v[58:59], v[66:67], v[58:59]
	v_div_scale_f64 v[66:67], s4, v[40:41], v[42:43], v[40:41]
	;; [unrolled: 2-line block ×3, first 2 shown]
	v_fma_f64 v[62:63], v[62:63], v[70:71], v[62:63]
	v_mul_f64 v[70:71], v[72:73], v[56:57]
	v_mul_f64 v[74:75], v[64:65], v[58:59]
	;; [unrolled: 1-line block ×3, first 2 shown]
	s_delay_alu instid0(VALU_DEP_4) | instskip(NEXT) | instid1(VALU_DEP_4)
	v_mul_f64 v[78:79], v[68:69], v[62:63]
	v_fma_f64 v[48:49], -v[48:49], v[70:71], v[72:73]
	s_delay_alu instid0(VALU_DEP_4) | instskip(NEXT) | instid1(VALU_DEP_4)
	v_fma_f64 v[50:51], -v[50:51], v[74:75], v[64:65]
	v_fma_f64 v[52:53], -v[52:53], v[76:77], v[66:67]
	s_delay_alu instid0(VALU_DEP_4) | instskip(NEXT) | instid1(VALU_DEP_4)
	v_fma_f64 v[54:55], -v[54:55], v[78:79], v[68:69]
	v_div_fmas_f64 v[48:49], v[48:49], v[56:57], v[70:71]
	s_mov_b32 vcc_lo, s3
	s_delay_alu instid0(VALU_DEP_4) | instskip(SKIP_1) | instid1(VALU_DEP_4)
	v_div_fmas_f64 v[50:51], v[50:51], v[58:59], v[74:75]
	s_mov_b32 vcc_lo, s4
	v_div_fmas_f64 v[52:53], v[52:53], v[60:61], v[76:77]
	s_mov_b32 vcc_lo, s5
	s_delay_alu instid0(VALU_DEP_4) | instskip(SKIP_1) | instid1(VALU_DEP_4)
	v_div_fmas_f64 v[54:55], v[54:55], v[62:63], v[78:79]
	s_and_not1_b32 vcc_lo, exec_lo, s31
	v_div_fixup_f64 v[28:29], v[48:49], v[34:35], v[28:29]
	s_delay_alu instid0(VALU_DEP_4) | instskip(NEXT) | instid1(VALU_DEP_4)
	v_div_fixup_f64 v[30:31], v[50:51], v[38:39], v[30:31]
	v_div_fixup_f64 v[34:35], v[52:53], v[42:43], v[40:41]
	s_delay_alu instid0(VALU_DEP_4) | instskip(NEXT) | instid1(VALU_DEP_4)
	v_div_fixup_f64 v[38:39], v[54:55], v[46:47], v[44:45]
	v_add_f64 v[26:27], v[26:27], -v[28:29]
	s_delay_alu instid0(VALU_DEP_4) | instskip(NEXT) | instid1(VALU_DEP_4)
	v_add_f64 v[9:10], v[10:11], -v[30:31]
	v_add_f64 v[28:29], v[32:33], -v[34:35]
	s_delay_alu instid0(VALU_DEP_4) | instskip(NEXT) | instid1(VALU_DEP_4)
	v_add_f64 v[30:31], v[36:37], -v[38:39]
	v_cvt_f32_f64_e32 v11, v[26:27]
	s_delay_alu instid0(VALU_DEP_4) | instskip(NEXT) | instid1(VALU_DEP_4)
	v_cvt_f32_f64_e32 v10, v[9:10]
	v_cvt_f32_f64_e32 v9, v[28:29]
	s_delay_alu instid0(VALU_DEP_4)
	v_cvt_f32_f64_e32 v12, v[30:31]
	global_store_b128 v[23:24], v[9:12], off
	s_cbranch_vccnz .LBB1_8
; %bb.18:                               ;   in Loop: Header=BB1_9 Depth=1
	global_store_b128 v[21:22], v[5:8], off
	s_branch .LBB1_8
.LBB1_19:
	s_or_b32 exec_lo, exec_lo, s30
	s_mov_b32 s2, 0
.LBB1_20:
	s_delay_alu instid0(SALU_CYCLE_1)
	s_and_not1_b32 vcc_lo, exec_lo, s2
	s_cbranch_vccnz .LBB1_74
; %bb.21:
	v_cmp_lt_i64_e64 s2, s[8:9], 1
	s_delay_alu instid0(VALU_DEP_1)
	s_and_b32 vcc_lo, exec_lo, s2
	s_cbranch_vccnz .LBB1_74
; %bb.22:
	s_load_b32 s1, s[0:1], 0xe1c
	v_dual_mov_b32 v2, 0 :: v_dual_lshlrev_b32 v1, 2, v0
	v_cmp_gt_u64_e64 s2, 0x10000, s[8:9]
	v_cmp_neq_f64_e64 s0, s[10:11], 0
	s_delay_alu instid0(VALU_DEP_3) | instskip(NEXT) | instid1(VALU_DEP_1)
	v_add_co_u32 v5, s3, s18, v1
	v_add_co_ci_u32_e64 v6, null, s19, 0, s3
	v_add_co_u32 v7, s3, s20, v1
	s_delay_alu instid0(VALU_DEP_1) | instskip(SKIP_1) | instid1(VALU_DEP_1)
	v_add_co_ci_u32_e64 v8, null, s21, 0, s3
	v_add_co_u32 v9, s3, s22, v1
	v_add_co_ci_u32_e64 v10, null, s23, 0, s3
	s_waitcnt lgkmcnt(0)
	s_and_b32 s1, s1, 0xffff
	s_and_b32 s2, s2, exec_lo
	v_mad_u64_u32 v[3:4], null, s1, 12, v[1:2]
	s_cselect_b32 s7, s9, 0
	s_cselect_b32 s6, s8, 0x10000
	s_lshl_b32 s2, s1, 1
	s_cmp_lg_u64 s[12:13], 0
	s_mul_i32 s3, s1, 3
	s_cselect_b32 s25, -1, 0
	s_delay_alu instid0(VALU_DEP_1)
	v_add_co_u32 v11, vcc_lo, s18, v3
	v_add_co_ci_u32_e32 v12, vcc_lo, s19, v4, vcc_lo
	v_add_co_u32 v15, vcc_lo, s20, v3
	s_lshl_b32 s4, s1, 3
	v_add_co_ci_u32_e32 v16, vcc_lo, s21, v4, vcc_lo
	v_add_co_u32 v17, vcc_lo, s22, v3
	v_add_co_u32 v3, s4, s4, v1
	v_add_co_ci_u32_e32 v18, vcc_lo, s23, v4, vcc_lo
	v_add_co_ci_u32_e64 v4, null, 0, 0, s4
	v_add_co_u32 v1, s3, s3, v0
	s_delay_alu instid0(VALU_DEP_4)
	v_add_co_u32 v20, vcc_lo, s18, v3
	v_add_co_ci_u32_e64 v19, null, 0, 0, s3
	v_add_co_u32 v24, s3, v0, s1
	v_add_co_ci_u32_e32 v21, vcc_lo, s19, v4, vcc_lo
	v_add_co_u32 v22, vcc_lo, s20, v3
	v_add_co_ci_u32_e32 v23, vcc_lo, s21, v4, vcc_lo
	v_add_co_u32 v25, vcc_lo, s22, v3
	v_lshlrev_b32_e32 v3, 2, v24
	v_add_co_u32 v28, s2, s2, v0
	s_delay_alu instid0(VALU_DEP_1) | instskip(NEXT) | instid1(VALU_DEP_3)
	v_add_co_ci_u32_e64 v29, null, 0, 0, s2
	v_add_co_u32 v30, s2, s18, v3
	s_delay_alu instid0(VALU_DEP_1) | instskip(SKIP_1) | instid1(VALU_DEP_1)
	v_add_co_ci_u32_e64 v31, null, s19, 0, s2
	v_add_co_u32 v32, s2, s20, v3
	v_add_co_ci_u32_e64 v33, null, s21, 0, s2
	v_add_co_u32 v34, s2, s22, v3
	v_add_co_ci_u32_e32 v26, vcc_lo, s23, v4, vcc_lo
	v_add_co_ci_u32_e64 v27, null, 0, 0, s3
	v_add_co_ci_u32_e64 v35, null, s23, 0, s2
	s_mov_b64 s[18:19], 0
	s_lshl_b32 s20, s1, 2
	s_lshl_b32 s21, s1, 4
	s_branch .LBB1_24
.LBB1_23:                               ;   in Loop: Header=BB1_24 Depth=1
	s_or_b32 exec_lo, exec_lo, s1
	v_add_co_u32 v5, vcc_lo, v5, s21
	v_add_co_ci_u32_e32 v6, vcc_lo, 0, v6, vcc_lo
	v_add_co_u32 v7, vcc_lo, v7, s21
	v_add_co_ci_u32_e32 v8, vcc_lo, 0, v8, vcc_lo
	;; [unrolled: 2-line block ×9, first 2 shown]
	s_add_u32 s18, s18, s20
	v_add_co_u32 v30, vcc_lo, v30, s21
	s_addc_u32 s19, s19, 0
	v_add_co_ci_u32_e32 v31, vcc_lo, 0, v31, vcc_lo
	v_cmp_ge_i64_e64 s1, s[18:19], s[8:9]
	v_cmp_lt_u64_e64 s2, 0xffff, s[18:19]
	v_add_co_u32 v32, vcc_lo, v32, s21
	v_add_co_ci_u32_e32 v33, vcc_lo, 0, v33, vcc_lo
	v_add_co_u32 v34, vcc_lo, v34, s21
	v_add_co_ci_u32_e32 v35, vcc_lo, 0, v35, vcc_lo
	s_or_b32 s1, s1, s2
	s_delay_alu instid0(SALU_CYCLE_1)
	s_and_b32 vcc_lo, exec_lo, s1
	s_cbranch_vccnz .LBB1_74
.LBB1_24:                               ; =>This Inner Loop Header: Depth=1
	v_add_co_u32 v3, s1, v0, s18
	s_delay_alu instid0(VALU_DEP_1) | instskip(SKIP_1) | instid1(VALU_DEP_2)
	v_add_co_ci_u32_e64 v4, null, 0, s19, s1
	v_mov_b32_e32 v37, 0
	v_cmp_gt_u64_e64 s1, s[6:7], v[3:4]
	v_mov_b32_e32 v3, 0
	s_delay_alu instid0(VALU_DEP_2)
	s_and_saveexec_b32 s2, s1
	s_cbranch_execz .LBB1_26
; %bb.25:                               ;   in Loop: Header=BB1_24 Depth=1
	v_add_co_u32 v3, vcc_lo, v5, s14
	v_add_co_ci_u32_e32 v4, vcc_lo, s15, v6, vcc_lo
	v_add_co_u32 v36, vcc_lo, v7, s14
	v_add_co_ci_u32_e32 v37, vcc_lo, s15, v8, vcc_lo
	global_load_b32 v3, v[3:4], off
	global_load_b32 v37, v[36:37], off
.LBB1_26:                               ;   in Loop: Header=BB1_24 Depth=1
	s_or_b32 exec_lo, exec_lo, s2
	v_mov_b32_e32 v46, 0
	v_mov_b32_e32 v36, 0
	s_and_saveexec_b32 s2, s1
	s_cbranch_execz .LBB1_28
; %bb.27:                               ;   in Loop: Header=BB1_24 Depth=1
	v_add_co_u32 v38, vcc_lo, v9, s14
	v_add_co_ci_u32_e32 v39, vcc_lo, s15, v10, vcc_lo
	global_load_b32 v36, v[38:39], off
.LBB1_28:                               ;   in Loop: Header=BB1_24 Depth=1
	s_or_b32 exec_lo, exec_lo, s2
	v_add_co_u32 v38, vcc_lo, v24, s18
	v_add_co_ci_u32_e32 v39, vcc_lo, s19, v27, vcc_lo
	s_delay_alu instid0(VALU_DEP_1) | instskip(SKIP_1) | instid1(VALU_DEP_2)
	v_cmp_gt_u64_e64 s2, s[6:7], v[38:39]
	v_mov_b32_e32 v39, 0
	s_and_saveexec_b32 s3, s2
	s_cbranch_execz .LBB1_30
; %bb.29:                               ;   in Loop: Header=BB1_24 Depth=1
	v_add_co_u32 v38, vcc_lo, v30, s14
	v_add_co_ci_u32_e32 v39, vcc_lo, s15, v31, vcc_lo
	v_add_co_u32 v40, vcc_lo, v32, s14
	v_add_co_ci_u32_e32 v41, vcc_lo, s15, v33, vcc_lo
	global_load_b32 v46, v[38:39], off
	global_load_b32 v39, v[40:41], off
.LBB1_30:                               ;   in Loop: Header=BB1_24 Depth=1
	s_or_b32 exec_lo, exec_lo, s3
	v_dual_mov_b32 v45, 0 :: v_dual_mov_b32 v38, 0
	s_and_saveexec_b32 s3, s2
	s_cbranch_execz .LBB1_32
; %bb.31:                               ;   in Loop: Header=BB1_24 Depth=1
	v_add_co_u32 v40, vcc_lo, v34, s14
	v_add_co_ci_u32_e32 v41, vcc_lo, s15, v35, vcc_lo
	global_load_b32 v38, v[40:41], off
.LBB1_32:                               ;   in Loop: Header=BB1_24 Depth=1
	s_or_b32 exec_lo, exec_lo, s3
	v_add_co_u32 v40, vcc_lo, v28, s18
	v_add_co_ci_u32_e32 v41, vcc_lo, s19, v29, vcc_lo
	s_delay_alu instid0(VALU_DEP_1) | instskip(SKIP_1) | instid1(VALU_DEP_2)
	v_cmp_gt_u64_e64 s3, s[6:7], v[40:41]
	v_mov_b32_e32 v41, 0
	s_and_saveexec_b32 s4, s3
	s_cbranch_execz .LBB1_34
; %bb.33:                               ;   in Loop: Header=BB1_24 Depth=1
	v_add_co_u32 v40, vcc_lo, v20, s14
	v_add_co_ci_u32_e32 v41, vcc_lo, s15, v21, vcc_lo
	v_add_co_u32 v42, vcc_lo, v22, s14
	v_add_co_ci_u32_e32 v43, vcc_lo, s15, v23, vcc_lo
	global_load_b32 v45, v[40:41], off
	global_load_b32 v41, v[42:43], off
.LBB1_34:                               ;   in Loop: Header=BB1_24 Depth=1
	s_or_b32 exec_lo, exec_lo, s4
	v_mov_b32_e32 v44, 0
	v_mov_b32_e32 v40, 0
	s_and_saveexec_b32 s4, s3
	s_cbranch_execz .LBB1_36
; %bb.35:                               ;   in Loop: Header=BB1_24 Depth=1
	v_add_co_u32 v42, vcc_lo, v25, s14
	v_add_co_ci_u32_e32 v43, vcc_lo, s15, v26, vcc_lo
	global_load_b32 v40, v[42:43], off
.LBB1_36:                               ;   in Loop: Header=BB1_24 Depth=1
	s_or_b32 exec_lo, exec_lo, s4
	v_add_co_u32 v42, vcc_lo, v1, s18
	v_add_co_ci_u32_e32 v43, vcc_lo, s19, v19, vcc_lo
	s_delay_alu instid0(VALU_DEP_1) | instskip(SKIP_1) | instid1(VALU_DEP_2)
	v_cmp_gt_u64_e64 s4, s[6:7], v[42:43]
	v_mov_b32_e32 v43, 0
	s_and_saveexec_b32 s5, s4
	s_cbranch_execnz .LBB1_65
; %bb.37:                               ;   in Loop: Header=BB1_24 Depth=1
	s_or_b32 exec_lo, exec_lo, s5
	v_mov_b32_e32 v42, 0
	s_and_saveexec_b32 s5, s4
	s_cbranch_execnz .LBB1_66
.LBB1_38:                               ;   in Loop: Header=BB1_24 Depth=1
	s_or_b32 exec_lo, exec_lo, s5
	s_delay_alu instid0(SALU_CYCLE_1)
	s_and_not1_b32 vcc_lo, exec_lo, s25
	s_cbranch_vccnz .LBB1_40
.LBB1_39:                               ;   in Loop: Header=BB1_24 Depth=1
	global_load_b32 v4, v2, s[12:13]
	s_waitcnt vmcnt(0)
	v_div_scale_f32 v47, null, v4, v4, v37
	s_delay_alu instid0(VALU_DEP_1) | instskip(SKIP_2) | instid1(VALU_DEP_1)
	v_rcp_f32_e32 v48, v47
	s_waitcnt_depctr 0xfff
	v_fma_f32 v49, -v47, v48, 1.0
	v_fmac_f32_e32 v48, v49, v48
	v_div_scale_f32 v49, vcc_lo, v37, v4, v37
	s_delay_alu instid0(VALU_DEP_1) | instskip(NEXT) | instid1(VALU_DEP_1)
	v_mul_f32_e32 v50, v49, v48
	v_fma_f32 v51, -v47, v50, v49
	s_delay_alu instid0(VALU_DEP_1) | instskip(NEXT) | instid1(VALU_DEP_1)
	v_fmac_f32_e32 v50, v51, v48
	v_fma_f32 v47, -v47, v50, v49
	s_delay_alu instid0(VALU_DEP_1) | instskip(NEXT) | instid1(VALU_DEP_1)
	v_div_fmas_f32 v47, v47, v48, v50
	v_div_fixup_f32 v37, v47, v4, v37
.LBB1_40:                               ;   in Loop: Header=BB1_24 Depth=1
	s_and_not1_b32 vcc_lo, exec_lo, s25
	s_cbranch_vccnz .LBB1_42
; %bb.41:                               ;   in Loop: Header=BB1_24 Depth=1
	global_load_b32 v4, v2, s[12:13]
	s_waitcnt vmcnt(0)
	v_div_scale_f32 v47, null, v4, v4, v39
	s_delay_alu instid0(VALU_DEP_1) | instskip(SKIP_2) | instid1(VALU_DEP_1)
	v_rcp_f32_e32 v48, v47
	s_waitcnt_depctr 0xfff
	v_fma_f32 v49, -v47, v48, 1.0
	v_fmac_f32_e32 v48, v49, v48
	v_div_scale_f32 v49, vcc_lo, v39, v4, v39
	s_delay_alu instid0(VALU_DEP_1) | instskip(NEXT) | instid1(VALU_DEP_1)
	v_mul_f32_e32 v50, v49, v48
	v_fma_f32 v51, -v47, v50, v49
	s_delay_alu instid0(VALU_DEP_1) | instskip(NEXT) | instid1(VALU_DEP_1)
	v_fmac_f32_e32 v50, v51, v48
	v_fma_f32 v47, -v47, v50, v49
	s_delay_alu instid0(VALU_DEP_1) | instskip(NEXT) | instid1(VALU_DEP_1)
	v_div_fmas_f32 v47, v47, v48, v50
	v_div_fixup_f32 v39, v47, v4, v39
.LBB1_42:                               ;   in Loop: Header=BB1_24 Depth=1
	s_and_not1_b32 vcc_lo, exec_lo, s25
	s_cbranch_vccnz .LBB1_44
; %bb.43:                               ;   in Loop: Header=BB1_24 Depth=1
	global_load_b32 v4, v2, s[12:13]
	s_waitcnt vmcnt(0)
	v_div_scale_f32 v47, null, v4, v4, v41
	s_delay_alu instid0(VALU_DEP_1) | instskip(SKIP_2) | instid1(VALU_DEP_1)
	v_rcp_f32_e32 v48, v47
	s_waitcnt_depctr 0xfff
	v_fma_f32 v49, -v47, v48, 1.0
	v_fmac_f32_e32 v48, v49, v48
	v_div_scale_f32 v49, vcc_lo, v41, v4, v41
	s_delay_alu instid0(VALU_DEP_1) | instskip(NEXT) | instid1(VALU_DEP_1)
	v_mul_f32_e32 v50, v49, v48
	v_fma_f32 v51, -v47, v50, v49
	s_delay_alu instid0(VALU_DEP_1) | instskip(NEXT) | instid1(VALU_DEP_1)
	v_fmac_f32_e32 v50, v51, v48
	v_fma_f32 v47, -v47, v50, v49
	s_delay_alu instid0(VALU_DEP_1) | instskip(NEXT) | instid1(VALU_DEP_1)
	v_div_fmas_f32 v47, v47, v48, v50
	v_div_fixup_f32 v41, v47, v4, v41
.LBB1_44:                               ;   in Loop: Header=BB1_24 Depth=1
	s_and_not1_b32 vcc_lo, exec_lo, s25
	s_cbranch_vccnz .LBB1_46
; %bb.45:                               ;   in Loop: Header=BB1_24 Depth=1
	global_load_b32 v4, v2, s[12:13]
	s_waitcnt vmcnt(0)
	v_div_scale_f32 v47, null, v4, v4, v43
	s_delay_alu instid0(VALU_DEP_1) | instskip(SKIP_2) | instid1(VALU_DEP_1)
	v_rcp_f32_e32 v48, v47
	s_waitcnt_depctr 0xfff
	v_fma_f32 v49, -v47, v48, 1.0
	v_fmac_f32_e32 v48, v49, v48
	v_div_scale_f32 v49, vcc_lo, v43, v4, v43
	s_delay_alu instid0(VALU_DEP_1) | instskip(NEXT) | instid1(VALU_DEP_1)
	v_mul_f32_e32 v50, v49, v48
	v_fma_f32 v51, -v47, v50, v49
	s_delay_alu instid0(VALU_DEP_1) | instskip(NEXT) | instid1(VALU_DEP_1)
	v_fmac_f32_e32 v50, v51, v48
	v_fma_f32 v47, -v47, v50, v49
	s_delay_alu instid0(VALU_DEP_1) | instskip(NEXT) | instid1(VALU_DEP_1)
	v_div_fmas_f32 v47, v47, v48, v50
	v_div_fixup_f32 v43, v47, v4, v43
.LBB1_46:                               ;   in Loop: Header=BB1_24 Depth=1
	s_waitcnt vmcnt(0)
	v_cndmask_b32_e64 v49, v37, -v37, s24
	v_cvt_f64_f32_e32 v[3:4], v3
	s_delay_alu instid0(VALU_DEP_2) | instskip(NEXT) | instid1(VALU_DEP_1)
	v_cvt_f64_f32_e32 v[47:48], v49
	v_fma_f64 v[47:48], v[3:4], s[10:11], v[47:48]
	s_delay_alu instid0(VALU_DEP_1) | instskip(NEXT) | instid1(VALU_DEP_1)
	v_cvt_f32_f64_e32 v47, v[47:48]
	v_cndmask_b32_e64 v47, v49, v47, s0
	s_delay_alu instid0(VALU_DEP_1)
	v_fmac_f32_e32 v36, v47, v47
	s_and_saveexec_b32 s22, s1
	s_cbranch_execz .LBB1_48
; %bb.47:                               ;   in Loop: Header=BB1_24 Depth=1
	s_delay_alu instid0(VALU_DEP_1) | instskip(SKIP_1) | instid1(VALU_DEP_2)
	v_mul_f32_e32 v48, 0x4f800000, v36
	v_cmp_gt_f32_e32 vcc_lo, 0xf800000, v36
	v_cndmask_b32_e32 v48, v36, v48, vcc_lo
	s_delay_alu instid0(VALU_DEP_1) | instskip(SKIP_3) | instid1(VALU_DEP_2)
	v_sqrt_f32_e32 v49, v48
	s_waitcnt_depctr 0xfff
	v_add_nc_u32_e32 v50, -1, v49
	v_add_nc_u32_e32 v51, 1, v49
	v_fma_f32 v52, -v50, v49, v48
	s_delay_alu instid0(VALU_DEP_2) | instskip(NEXT) | instid1(VALU_DEP_2)
	v_fma_f32 v53, -v51, v49, v48
	v_cmp_ge_f32_e64 s5, 0, v52
	s_delay_alu instid0(VALU_DEP_1) | instskip(NEXT) | instid1(VALU_DEP_3)
	v_cndmask_b32_e64 v49, v49, v50, s5
	v_cmp_lt_f32_e64 s5, 0, v53
	s_delay_alu instid0(VALU_DEP_1) | instskip(NEXT) | instid1(VALU_DEP_1)
	v_cndmask_b32_e64 v49, v49, v51, s5
	v_mul_f32_e32 v50, 0x37800000, v49
	s_delay_alu instid0(VALU_DEP_1) | instskip(SKIP_1) | instid1(VALU_DEP_2)
	v_cndmask_b32_e32 v49, v49, v50, vcc_lo
	v_cmp_class_f32_e64 vcc_lo, v48, 0x260
	v_cndmask_b32_e32 v49, v49, v48, vcc_lo
	v_cvt_f64_f32_e32 v[47:48], v47
	s_delay_alu instid0(VALU_DEP_2) | instskip(NEXT) | instid1(VALU_DEP_2)
	v_cvt_f64_f32_e32 v[49:50], v49
	v_mul_f64 v[47:48], v[13:14], v[47:48]
	s_delay_alu instid0(VALU_DEP_2) | instskip(NEXT) | instid1(VALU_DEP_1)
	v_add_f64 v[49:50], v[49:50], s[16:17]
	v_div_scale_f64 v[51:52], null, v[49:50], v[49:50], v[47:48]
	s_delay_alu instid0(VALU_DEP_1) | instskip(SKIP_2) | instid1(VALU_DEP_1)
	v_rcp_f64_e32 v[53:54], v[51:52]
	s_waitcnt_depctr 0xfff
	v_fma_f64 v[55:56], -v[51:52], v[53:54], 1.0
	v_fma_f64 v[53:54], v[53:54], v[55:56], v[53:54]
	s_delay_alu instid0(VALU_DEP_1) | instskip(NEXT) | instid1(VALU_DEP_1)
	v_fma_f64 v[55:56], -v[51:52], v[53:54], 1.0
	v_fma_f64 v[53:54], v[53:54], v[55:56], v[53:54]
	v_div_scale_f64 v[55:56], vcc_lo, v[47:48], v[49:50], v[47:48]
	s_delay_alu instid0(VALU_DEP_1) | instskip(NEXT) | instid1(VALU_DEP_1)
	v_mul_f64 v[57:58], v[55:56], v[53:54]
	v_fma_f64 v[51:52], -v[51:52], v[57:58], v[55:56]
	s_delay_alu instid0(VALU_DEP_1) | instskip(NEXT) | instid1(VALU_DEP_1)
	v_div_fmas_f64 v[51:52], v[51:52], v[53:54], v[57:58]
	v_div_fixup_f64 v[47:48], v[51:52], v[49:50], v[47:48]
	s_delay_alu instid0(VALU_DEP_1) | instskip(NEXT) | instid1(VALU_DEP_1)
	v_add_f64 v[3:4], v[3:4], -v[47:48]
	v_cvt_f32_f64_e32 v47, v[3:4]
	v_add_co_u32 v3, vcc_lo, v5, s14
	v_add_co_ci_u32_e32 v4, vcc_lo, s15, v6, vcc_lo
	global_store_b32 v[3:4], v47, off
.LBB1_48:                               ;   in Loop: Header=BB1_24 Depth=1
	s_or_b32 exec_lo, exec_lo, s22
	v_cndmask_b32_e64 v48, v39, -v39, s24
	v_cvt_f64_f32_e32 v[3:4], v46
	s_delay_alu instid0(VALU_DEP_2) | instskip(NEXT) | instid1(VALU_DEP_1)
	v_cvt_f64_f32_e32 v[46:47], v48
	v_fma_f64 v[46:47], v[3:4], s[10:11], v[46:47]
	s_delay_alu instid0(VALU_DEP_1) | instskip(NEXT) | instid1(VALU_DEP_1)
	v_cvt_f32_f64_e32 v46, v[46:47]
	v_cndmask_b32_e64 v46, v48, v46, s0
	s_delay_alu instid0(VALU_DEP_1)
	v_fmac_f32_e32 v38, v46, v46
	s_and_saveexec_b32 s22, s2
	s_cbranch_execz .LBB1_50
; %bb.49:                               ;   in Loop: Header=BB1_24 Depth=1
	s_delay_alu instid0(VALU_DEP_1) | instskip(SKIP_1) | instid1(VALU_DEP_2)
	v_mul_f32_e32 v47, 0x4f800000, v38
	v_cmp_gt_f32_e32 vcc_lo, 0xf800000, v38
	v_cndmask_b32_e32 v47, v38, v47, vcc_lo
	s_delay_alu instid0(VALU_DEP_1) | instskip(SKIP_3) | instid1(VALU_DEP_2)
	v_sqrt_f32_e32 v48, v47
	s_waitcnt_depctr 0xfff
	v_add_nc_u32_e32 v49, -1, v48
	v_add_nc_u32_e32 v50, 1, v48
	v_fma_f32 v51, -v49, v48, v47
	s_delay_alu instid0(VALU_DEP_2) | instskip(NEXT) | instid1(VALU_DEP_2)
	v_fma_f32 v52, -v50, v48, v47
	v_cmp_ge_f32_e64 s5, 0, v51
	s_delay_alu instid0(VALU_DEP_1) | instskip(NEXT) | instid1(VALU_DEP_3)
	v_cndmask_b32_e64 v48, v48, v49, s5
	v_cmp_lt_f32_e64 s5, 0, v52
	s_delay_alu instid0(VALU_DEP_1) | instskip(NEXT) | instid1(VALU_DEP_1)
	v_cndmask_b32_e64 v48, v48, v50, s5
	v_mul_f32_e32 v49, 0x37800000, v48
	s_delay_alu instid0(VALU_DEP_1) | instskip(SKIP_1) | instid1(VALU_DEP_2)
	v_cndmask_b32_e32 v48, v48, v49, vcc_lo
	v_cmp_class_f32_e64 vcc_lo, v47, 0x260
	v_cndmask_b32_e32 v48, v48, v47, vcc_lo
	v_cvt_f64_f32_e32 v[46:47], v46
	s_delay_alu instid0(VALU_DEP_2) | instskip(NEXT) | instid1(VALU_DEP_2)
	v_cvt_f64_f32_e32 v[48:49], v48
	v_mul_f64 v[46:47], v[13:14], v[46:47]
	s_delay_alu instid0(VALU_DEP_2) | instskip(NEXT) | instid1(VALU_DEP_1)
	v_add_f64 v[48:49], v[48:49], s[16:17]
	v_div_scale_f64 v[50:51], null, v[48:49], v[48:49], v[46:47]
	s_delay_alu instid0(VALU_DEP_1) | instskip(SKIP_2) | instid1(VALU_DEP_1)
	v_rcp_f64_e32 v[52:53], v[50:51]
	s_waitcnt_depctr 0xfff
	v_fma_f64 v[54:55], -v[50:51], v[52:53], 1.0
	v_fma_f64 v[52:53], v[52:53], v[54:55], v[52:53]
	s_delay_alu instid0(VALU_DEP_1) | instskip(NEXT) | instid1(VALU_DEP_1)
	v_fma_f64 v[54:55], -v[50:51], v[52:53], 1.0
	v_fma_f64 v[52:53], v[52:53], v[54:55], v[52:53]
	v_div_scale_f64 v[54:55], vcc_lo, v[46:47], v[48:49], v[46:47]
	s_delay_alu instid0(VALU_DEP_1) | instskip(NEXT) | instid1(VALU_DEP_1)
	v_mul_f64 v[56:57], v[54:55], v[52:53]
	v_fma_f64 v[50:51], -v[50:51], v[56:57], v[54:55]
	s_delay_alu instid0(VALU_DEP_1) | instskip(NEXT) | instid1(VALU_DEP_1)
	v_div_fmas_f64 v[50:51], v[50:51], v[52:53], v[56:57]
	v_div_fixup_f64 v[46:47], v[50:51], v[48:49], v[46:47]
	s_delay_alu instid0(VALU_DEP_1) | instskip(NEXT) | instid1(VALU_DEP_1)
	v_add_f64 v[3:4], v[3:4], -v[46:47]
	v_cvt_f32_f64_e32 v46, v[3:4]
	v_add_co_u32 v3, vcc_lo, v30, s14
	v_add_co_ci_u32_e32 v4, vcc_lo, s15, v31, vcc_lo
	global_store_b32 v[3:4], v46, off
.LBB1_50:                               ;   in Loop: Header=BB1_24 Depth=1
	s_or_b32 exec_lo, exec_lo, s22
	v_cndmask_b32_e64 v47, v41, -v41, s24
	v_cvt_f64_f32_e32 v[3:4], v45
	s_delay_alu instid0(VALU_DEP_2) | instskip(NEXT) | instid1(VALU_DEP_1)
	v_cvt_f64_f32_e32 v[45:46], v47
	v_fma_f64 v[45:46], v[3:4], s[10:11], v[45:46]
	s_delay_alu instid0(VALU_DEP_1) | instskip(NEXT) | instid1(VALU_DEP_1)
	v_cvt_f32_f64_e32 v45, v[45:46]
	v_cndmask_b32_e64 v45, v47, v45, s0
	s_delay_alu instid0(VALU_DEP_1)
	v_fmac_f32_e32 v40, v45, v45
	s_and_saveexec_b32 s22, s3
	s_cbranch_execz .LBB1_52
; %bb.51:                               ;   in Loop: Header=BB1_24 Depth=1
	s_delay_alu instid0(VALU_DEP_1) | instskip(SKIP_1) | instid1(VALU_DEP_2)
	v_mul_f32_e32 v46, 0x4f800000, v40
	v_cmp_gt_f32_e32 vcc_lo, 0xf800000, v40
	v_cndmask_b32_e32 v46, v40, v46, vcc_lo
	s_delay_alu instid0(VALU_DEP_1) | instskip(SKIP_3) | instid1(VALU_DEP_2)
	v_sqrt_f32_e32 v47, v46
	s_waitcnt_depctr 0xfff
	v_add_nc_u32_e32 v48, -1, v47
	v_add_nc_u32_e32 v49, 1, v47
	v_fma_f32 v50, -v48, v47, v46
	s_delay_alu instid0(VALU_DEP_2) | instskip(NEXT) | instid1(VALU_DEP_2)
	v_fma_f32 v51, -v49, v47, v46
	v_cmp_ge_f32_e64 s5, 0, v50
	s_delay_alu instid0(VALU_DEP_1) | instskip(NEXT) | instid1(VALU_DEP_3)
	v_cndmask_b32_e64 v47, v47, v48, s5
	v_cmp_lt_f32_e64 s5, 0, v51
	s_delay_alu instid0(VALU_DEP_1) | instskip(NEXT) | instid1(VALU_DEP_1)
	v_cndmask_b32_e64 v47, v47, v49, s5
	v_mul_f32_e32 v48, 0x37800000, v47
	s_delay_alu instid0(VALU_DEP_1) | instskip(SKIP_1) | instid1(VALU_DEP_2)
	v_cndmask_b32_e32 v47, v47, v48, vcc_lo
	v_cmp_class_f32_e64 vcc_lo, v46, 0x260
	v_cndmask_b32_e32 v47, v47, v46, vcc_lo
	v_cvt_f64_f32_e32 v[45:46], v45
	s_delay_alu instid0(VALU_DEP_2) | instskip(NEXT) | instid1(VALU_DEP_2)
	v_cvt_f64_f32_e32 v[47:48], v47
	v_mul_f64 v[45:46], v[13:14], v[45:46]
	s_delay_alu instid0(VALU_DEP_2) | instskip(NEXT) | instid1(VALU_DEP_1)
	v_add_f64 v[47:48], v[47:48], s[16:17]
	v_div_scale_f64 v[49:50], null, v[47:48], v[47:48], v[45:46]
	s_delay_alu instid0(VALU_DEP_1) | instskip(SKIP_2) | instid1(VALU_DEP_1)
	v_rcp_f64_e32 v[51:52], v[49:50]
	s_waitcnt_depctr 0xfff
	v_fma_f64 v[53:54], -v[49:50], v[51:52], 1.0
	v_fma_f64 v[51:52], v[51:52], v[53:54], v[51:52]
	s_delay_alu instid0(VALU_DEP_1) | instskip(NEXT) | instid1(VALU_DEP_1)
	v_fma_f64 v[53:54], -v[49:50], v[51:52], 1.0
	v_fma_f64 v[51:52], v[51:52], v[53:54], v[51:52]
	v_div_scale_f64 v[53:54], vcc_lo, v[45:46], v[47:48], v[45:46]
	s_delay_alu instid0(VALU_DEP_1) | instskip(NEXT) | instid1(VALU_DEP_1)
	v_mul_f64 v[55:56], v[53:54], v[51:52]
	v_fma_f64 v[49:50], -v[49:50], v[55:56], v[53:54]
	s_delay_alu instid0(VALU_DEP_1) | instskip(NEXT) | instid1(VALU_DEP_1)
	v_div_fmas_f64 v[49:50], v[49:50], v[51:52], v[55:56]
	v_div_fixup_f64 v[45:46], v[49:50], v[47:48], v[45:46]
	s_delay_alu instid0(VALU_DEP_1) | instskip(NEXT) | instid1(VALU_DEP_1)
	v_add_f64 v[3:4], v[3:4], -v[45:46]
	v_cvt_f32_f64_e32 v45, v[3:4]
	v_add_co_u32 v3, vcc_lo, v20, s14
	v_add_co_ci_u32_e32 v4, vcc_lo, s15, v21, vcc_lo
	global_store_b32 v[3:4], v45, off
.LBB1_52:                               ;   in Loop: Header=BB1_24 Depth=1
	s_or_b32 exec_lo, exec_lo, s22
	v_cndmask_b32_e64 v46, v43, -v43, s24
	v_cvt_f64_f32_e32 v[3:4], v44
	s_delay_alu instid0(VALU_DEP_2) | instskip(NEXT) | instid1(VALU_DEP_1)
	v_cvt_f64_f32_e32 v[44:45], v46
	v_fma_f64 v[44:45], v[3:4], s[10:11], v[44:45]
	s_delay_alu instid0(VALU_DEP_1) | instskip(NEXT) | instid1(VALU_DEP_1)
	v_cvt_f32_f64_e32 v44, v[44:45]
	v_cndmask_b32_e64 v44, v46, v44, s0
	s_delay_alu instid0(VALU_DEP_1)
	v_fmac_f32_e32 v42, v44, v44
	s_and_saveexec_b32 s22, s4
	s_cbranch_execz .LBB1_54
; %bb.53:                               ;   in Loop: Header=BB1_24 Depth=1
	s_delay_alu instid0(VALU_DEP_1) | instskip(SKIP_1) | instid1(VALU_DEP_1)
	v_cmp_gt_f32_e32 vcc_lo, 0xf800000, v42
	v_mul_f32_e32 v45, 0x4f800000, v42
	v_cndmask_b32_e32 v45, v42, v45, vcc_lo
	s_delay_alu instid0(VALU_DEP_1) | instskip(SKIP_3) | instid1(VALU_DEP_2)
	v_sqrt_f32_e32 v46, v45
	s_waitcnt_depctr 0xfff
	v_add_nc_u32_e32 v48, 1, v46
	v_add_nc_u32_e32 v47, -1, v46
	v_fma_f32 v50, -v48, v46, v45
	s_delay_alu instid0(VALU_DEP_2) | instskip(NEXT) | instid1(VALU_DEP_1)
	v_fma_f32 v49, -v47, v46, v45
	v_cmp_ge_f32_e64 s5, 0, v49
	s_delay_alu instid0(VALU_DEP_1) | instskip(NEXT) | instid1(VALU_DEP_4)
	v_cndmask_b32_e64 v46, v46, v47, s5
	v_cmp_lt_f32_e64 s5, 0, v50
	s_delay_alu instid0(VALU_DEP_1) | instskip(NEXT) | instid1(VALU_DEP_1)
	v_cndmask_b32_e64 v46, v46, v48, s5
	v_mul_f32_e32 v47, 0x37800000, v46
	s_delay_alu instid0(VALU_DEP_1) | instskip(SKIP_1) | instid1(VALU_DEP_2)
	v_cndmask_b32_e32 v46, v46, v47, vcc_lo
	v_cmp_class_f32_e64 vcc_lo, v45, 0x260
	v_cndmask_b32_e32 v46, v46, v45, vcc_lo
	v_cvt_f64_f32_e32 v[44:45], v44
	s_delay_alu instid0(VALU_DEP_2) | instskip(NEXT) | instid1(VALU_DEP_2)
	v_cvt_f64_f32_e32 v[46:47], v46
	v_mul_f64 v[44:45], v[13:14], v[44:45]
	s_delay_alu instid0(VALU_DEP_2) | instskip(NEXT) | instid1(VALU_DEP_1)
	v_add_f64 v[46:47], v[46:47], s[16:17]
	v_div_scale_f64 v[48:49], null, v[46:47], v[46:47], v[44:45]
	s_delay_alu instid0(VALU_DEP_1) | instskip(SKIP_2) | instid1(VALU_DEP_1)
	v_rcp_f64_e32 v[50:51], v[48:49]
	s_waitcnt_depctr 0xfff
	v_fma_f64 v[52:53], -v[48:49], v[50:51], 1.0
	v_fma_f64 v[50:51], v[50:51], v[52:53], v[50:51]
	s_delay_alu instid0(VALU_DEP_1) | instskip(NEXT) | instid1(VALU_DEP_1)
	v_fma_f64 v[52:53], -v[48:49], v[50:51], 1.0
	v_fma_f64 v[50:51], v[50:51], v[52:53], v[50:51]
	v_div_scale_f64 v[52:53], vcc_lo, v[44:45], v[46:47], v[44:45]
	s_delay_alu instid0(VALU_DEP_1) | instskip(NEXT) | instid1(VALU_DEP_1)
	v_mul_f64 v[54:55], v[52:53], v[50:51]
	v_fma_f64 v[48:49], -v[48:49], v[54:55], v[52:53]
	s_delay_alu instid0(VALU_DEP_1) | instskip(NEXT) | instid1(VALU_DEP_1)
	v_div_fmas_f64 v[48:49], v[48:49], v[50:51], v[54:55]
	v_div_fixup_f64 v[44:45], v[48:49], v[46:47], v[44:45]
	s_delay_alu instid0(VALU_DEP_1) | instskip(NEXT) | instid1(VALU_DEP_1)
	v_add_f64 v[3:4], v[3:4], -v[44:45]
	v_cvt_f32_f64_e32 v44, v[3:4]
	v_add_co_u32 v3, vcc_lo, v11, s14
	v_add_co_ci_u32_e32 v4, vcc_lo, s15, v12, vcc_lo
	global_store_b32 v[3:4], v44, off
.LBB1_54:                               ;   in Loop: Header=BB1_24 Depth=1
	s_or_b32 exec_lo, exec_lo, s22
	s_delay_alu instid0(SALU_CYCLE_1)
	s_and_not1_b32 vcc_lo, exec_lo, s25
	s_cbranch_vccnz .LBB1_61
; %bb.55:                               ;   in Loop: Header=BB1_24 Depth=1
	s_and_saveexec_b32 s5, s1
	s_cbranch_execnz .LBB1_71
; %bb.56:                               ;   in Loop: Header=BB1_24 Depth=1
	s_or_b32 exec_lo, exec_lo, s5
	s_and_saveexec_b32 s5, s2
	s_cbranch_execnz .LBB1_72
.LBB1_57:                               ;   in Loop: Header=BB1_24 Depth=1
	s_or_b32 exec_lo, exec_lo, s5
	s_and_saveexec_b32 s5, s3
	s_cbranch_execnz .LBB1_73
.LBB1_58:                               ;   in Loop: Header=BB1_24 Depth=1
	s_or_b32 exec_lo, exec_lo, s5
	s_and_saveexec_b32 s5, s4
	s_cbranch_execz .LBB1_60
.LBB1_59:                               ;   in Loop: Header=BB1_24 Depth=1
	v_add_co_u32 v3, vcc_lo, v15, s14
	v_add_co_ci_u32_e32 v4, vcc_lo, s15, v16, vcc_lo
	global_store_b32 v[3:4], v43, off
.LBB1_60:                               ;   in Loop: Header=BB1_24 Depth=1
	s_or_b32 exec_lo, exec_lo, s5
.LBB1_61:                               ;   in Loop: Header=BB1_24 Depth=1
	s_and_saveexec_b32 s5, s1
	s_cbranch_execnz .LBB1_67
; %bb.62:                               ;   in Loop: Header=BB1_24 Depth=1
	s_or_b32 exec_lo, exec_lo, s5
	s_and_saveexec_b32 s1, s2
	s_cbranch_execnz .LBB1_68
.LBB1_63:                               ;   in Loop: Header=BB1_24 Depth=1
	s_or_b32 exec_lo, exec_lo, s1
	s_and_saveexec_b32 s1, s3
	s_cbranch_execnz .LBB1_69
.LBB1_64:                               ;   in Loop: Header=BB1_24 Depth=1
	s_or_b32 exec_lo, exec_lo, s1
	s_and_saveexec_b32 s1, s4
	s_cbranch_execz .LBB1_23
	s_branch .LBB1_70
.LBB1_65:                               ;   in Loop: Header=BB1_24 Depth=1
	v_add_co_u32 v42, vcc_lo, v11, s14
	v_add_co_ci_u32_e32 v43, vcc_lo, s15, v12, vcc_lo
	v_add_co_u32 v47, vcc_lo, v15, s14
	v_add_co_ci_u32_e32 v48, vcc_lo, s15, v16, vcc_lo
	global_load_b32 v44, v[42:43], off
	global_load_b32 v43, v[47:48], off
	s_or_b32 exec_lo, exec_lo, s5
	v_mov_b32_e32 v42, 0
	s_and_saveexec_b32 s5, s4
	s_cbranch_execz .LBB1_38
.LBB1_66:                               ;   in Loop: Header=BB1_24 Depth=1
	v_add_co_u32 v47, vcc_lo, v17, s14
	v_add_co_ci_u32_e32 v48, vcc_lo, s15, v18, vcc_lo
	global_load_b32 v42, v[47:48], off
	s_or_b32 exec_lo, exec_lo, s5
	s_delay_alu instid0(SALU_CYCLE_1)
	s_and_not1_b32 vcc_lo, exec_lo, s25
	s_cbranch_vccz .LBB1_39
	s_branch .LBB1_40
.LBB1_67:                               ;   in Loop: Header=BB1_24 Depth=1
	v_add_co_u32 v3, vcc_lo, v9, s14
	v_add_co_ci_u32_e32 v4, vcc_lo, s15, v10, vcc_lo
	global_store_b32 v[3:4], v36, off
	s_or_b32 exec_lo, exec_lo, s5
	s_and_saveexec_b32 s1, s2
	s_cbranch_execz .LBB1_63
.LBB1_68:                               ;   in Loop: Header=BB1_24 Depth=1
	v_add_co_u32 v3, vcc_lo, v34, s14
	v_add_co_ci_u32_e32 v4, vcc_lo, s15, v35, vcc_lo
	global_store_b32 v[3:4], v38, off
	s_or_b32 exec_lo, exec_lo, s1
	s_and_saveexec_b32 s1, s3
	s_cbranch_execz .LBB1_64
.LBB1_69:                               ;   in Loop: Header=BB1_24 Depth=1
	v_add_co_u32 v3, vcc_lo, v25, s14
	v_add_co_ci_u32_e32 v4, vcc_lo, s15, v26, vcc_lo
	global_store_b32 v[3:4], v40, off
	s_or_b32 exec_lo, exec_lo, s1
	s_and_saveexec_b32 s1, s4
	s_cbranch_execz .LBB1_23
.LBB1_70:                               ;   in Loop: Header=BB1_24 Depth=1
	v_add_co_u32 v3, vcc_lo, v17, s14
	v_add_co_ci_u32_e32 v4, vcc_lo, s15, v18, vcc_lo
	global_store_b32 v[3:4], v42, off
	s_branch .LBB1_23
.LBB1_71:                               ;   in Loop: Header=BB1_24 Depth=1
	v_add_co_u32 v3, vcc_lo, v7, s14
	v_add_co_ci_u32_e32 v4, vcc_lo, s15, v8, vcc_lo
	global_store_b32 v[3:4], v37, off
	s_or_b32 exec_lo, exec_lo, s5
	s_and_saveexec_b32 s5, s2
	s_cbranch_execz .LBB1_57
.LBB1_72:                               ;   in Loop: Header=BB1_24 Depth=1
	v_add_co_u32 v3, vcc_lo, v32, s14
	v_add_co_ci_u32_e32 v4, vcc_lo, s15, v33, vcc_lo
	global_store_b32 v[3:4], v39, off
	s_or_b32 exec_lo, exec_lo, s5
	s_and_saveexec_b32 s5, s3
	s_cbranch_execz .LBB1_58
.LBB1_73:                               ;   in Loop: Header=BB1_24 Depth=1
	v_add_co_u32 v3, vcc_lo, v22, s14
	v_add_co_ci_u32_e32 v4, vcc_lo, s15, v23, vcc_lo
	global_store_b32 v[3:4], v41, off
	s_or_b32 exec_lo, exec_lo, s5
	s_and_saveexec_b32 s5, s4
	s_cbranch_execnz .LBB1_59
	s_branch .LBB1_60
.LBB1_74:
	s_nop 0
	s_sendmsg sendmsg(MSG_DEALLOC_VGPRS)
	s_endpgm
	.section	.rodata,"a",@progbits
	.p2align	6, 0x0
	.amdhsa_kernel _ZN2at6native12_GLOBAL__N_125multi_tensor_apply_kernelINS1_32FusedOptimizerTensorListMetadataILi3EEENS1_23FusedAdagradMathFunctorIfEEJPKfddddbS8_S8_EEEvT_T0_DpT1_
		.amdhsa_group_segment_fixed_size 0
		.amdhsa_private_segment_fixed_size 0
		.amdhsa_kernarg_size 3856
		.amdhsa_user_sgpr_count 15
		.amdhsa_user_sgpr_dispatch_ptr 0
		.amdhsa_user_sgpr_queue_ptr 0
		.amdhsa_user_sgpr_kernarg_segment_ptr 1
		.amdhsa_user_sgpr_dispatch_id 0
		.amdhsa_user_sgpr_private_segment_size 0
		.amdhsa_wavefront_size32 1
		.amdhsa_uses_dynamic_stack 0
		.amdhsa_enable_private_segment 0
		.amdhsa_system_sgpr_workgroup_id_x 1
		.amdhsa_system_sgpr_workgroup_id_y 0
		.amdhsa_system_sgpr_workgroup_id_z 0
		.amdhsa_system_sgpr_workgroup_info 0
		.amdhsa_system_vgpr_workitem_id 0
		.amdhsa_next_free_vgpr 80
		.amdhsa_next_free_sgpr 36
		.amdhsa_reserve_vcc 1
		.amdhsa_float_round_mode_32 0
		.amdhsa_float_round_mode_16_64 0
		.amdhsa_float_denorm_mode_32 3
		.amdhsa_float_denorm_mode_16_64 3
		.amdhsa_dx10_clamp 1
		.amdhsa_ieee_mode 1
		.amdhsa_fp16_overflow 0
		.amdhsa_workgroup_processor_mode 1
		.amdhsa_memory_ordered 1
		.amdhsa_forward_progress 0
		.amdhsa_shared_vgpr_count 0
		.amdhsa_exception_fp_ieee_invalid_op 0
		.amdhsa_exception_fp_denorm_src 0
		.amdhsa_exception_fp_ieee_div_zero 0
		.amdhsa_exception_fp_ieee_overflow 0
		.amdhsa_exception_fp_ieee_underflow 0
		.amdhsa_exception_fp_ieee_inexact 0
		.amdhsa_exception_int_div_zero 0
	.end_amdhsa_kernel
	.section	.text._ZN2at6native12_GLOBAL__N_125multi_tensor_apply_kernelINS1_32FusedOptimizerTensorListMetadataILi3EEENS1_23FusedAdagradMathFunctorIfEEJPKfddddbS8_S8_EEEvT_T0_DpT1_,"axG",@progbits,_ZN2at6native12_GLOBAL__N_125multi_tensor_apply_kernelINS1_32FusedOptimizerTensorListMetadataILi3EEENS1_23FusedAdagradMathFunctorIfEEJPKfddddbS8_S8_EEEvT_T0_DpT1_,comdat
.Lfunc_end1:
	.size	_ZN2at6native12_GLOBAL__N_125multi_tensor_apply_kernelINS1_32FusedOptimizerTensorListMetadataILi3EEENS1_23FusedAdagradMathFunctorIfEEJPKfddddbS8_S8_EEEvT_T0_DpT1_, .Lfunc_end1-_ZN2at6native12_GLOBAL__N_125multi_tensor_apply_kernelINS1_32FusedOptimizerTensorListMetadataILi3EEENS1_23FusedAdagradMathFunctorIfEEJPKfddddbS8_S8_EEEvT_T0_DpT1_
                                        ; -- End function
	.section	.AMDGPU.csdata,"",@progbits
; Kernel info:
; codeLenInByte = 5976
; NumSgprs: 38
; NumVgprs: 80
; ScratchSize: 0
; MemoryBound: 0
; FloatMode: 240
; IeeeMode: 1
; LDSByteSize: 0 bytes/workgroup (compile time only)
; SGPRBlocks: 4
; VGPRBlocks: 9
; NumSGPRsForWavesPerEU: 38
; NumVGPRsForWavesPerEU: 80
; Occupancy: 16
; WaveLimiterHint : 0
; COMPUTE_PGM_RSRC2:SCRATCH_EN: 0
; COMPUTE_PGM_RSRC2:USER_SGPR: 15
; COMPUTE_PGM_RSRC2:TRAP_HANDLER: 0
; COMPUTE_PGM_RSRC2:TGID_X_EN: 1
; COMPUTE_PGM_RSRC2:TGID_Y_EN: 0
; COMPUTE_PGM_RSRC2:TGID_Z_EN: 0
; COMPUTE_PGM_RSRC2:TIDIG_COMP_CNT: 0
	.section	.text._ZN2at6native12_GLOBAL__N_125multi_tensor_apply_kernelINS1_32FusedOptimizerTensorListMetadataILi3EEENS1_23FusedAdagradMathFunctorIN3c104HalfEEEJPKfddddbSA_SA_EEEvT_T0_DpT1_,"axG",@progbits,_ZN2at6native12_GLOBAL__N_125multi_tensor_apply_kernelINS1_32FusedOptimizerTensorListMetadataILi3EEENS1_23FusedAdagradMathFunctorIN3c104HalfEEEJPKfddddbSA_SA_EEEvT_T0_DpT1_,comdat
	.globl	_ZN2at6native12_GLOBAL__N_125multi_tensor_apply_kernelINS1_32FusedOptimizerTensorListMetadataILi3EEENS1_23FusedAdagradMathFunctorIN3c104HalfEEEJPKfddddbSA_SA_EEEvT_T0_DpT1_ ; -- Begin function _ZN2at6native12_GLOBAL__N_125multi_tensor_apply_kernelINS1_32FusedOptimizerTensorListMetadataILi3EEENS1_23FusedAdagradMathFunctorIN3c104HalfEEEJPKfddddbSA_SA_EEEvT_T0_DpT1_
	.p2align	8
	.type	_ZN2at6native12_GLOBAL__N_125multi_tensor_apply_kernelINS1_32FusedOptimizerTensorListMetadataILi3EEENS1_23FusedAdagradMathFunctorIN3c104HalfEEEJPKfddddbSA_SA_EEEvT_T0_DpT1_,@function
_ZN2at6native12_GLOBAL__N_125multi_tensor_apply_kernelINS1_32FusedOptimizerTensorListMetadataILi3EEENS1_23FusedAdagradMathFunctorIN3c104HalfEEEJPKfddddbSA_SA_EEEvT_T0_DpT1_: ; @_ZN2at6native12_GLOBAL__N_125multi_tensor_apply_kernelINS1_32FusedOptimizerTensorListMetadataILi3EEENS1_23FusedAdagradMathFunctorIN3c104HalfEEEJPKfddddbSA_SA_EEEvT_T0_DpT1_
; %bb.0:
	s_load_b256 s[4:11], s[0:1], 0xdd0
	v_mov_b32_e32 v1, s15
	s_add_u32 s2, s0, s15
	s_mul_hi_u32 s3, s15, 3
	s_mul_i32 s15, s15, 3
	s_addc_u32 s12, s1, 0
	global_load_u8 v1, v1, s[0:1] offset:1920
	s_add_u32 s2, s2, s15
	s_addc_u32 s3, s12, s3
	s_waitcnt lgkmcnt(0)
	s_cmp_eq_u64 s[4:5], 0
	s_waitcnt vmcnt(0)
	v_readfirstlane_b32 s16, v1
	v_dual_mov_b32 v1, s6 :: v_dual_mov_b32 v2, s7
	s_cbranch_scc1 .LBB2_2
; %bb.1:
	s_load_b32 s4, s[4:5], 0x0
	s_waitcnt lgkmcnt(0)
	v_cvt_f64_f32_e32 v[1:2], s4
.LBB2_2:
	s_load_b128 s[12:15], s[0:1], 0xe00
	s_waitcnt lgkmcnt(0)
	s_cmp_eq_u64 s[14:15], 0
	s_cselect_b32 s4, -1, 0
	s_delay_alu instid0(SALU_CYCLE_1)
	s_and_b32 vcc_lo, exec_lo, s4
	s_cbranch_vccnz .LBB2_4
; %bb.3:
	s_load_b32 s4, s[14:15], 0x0
	s_waitcnt lgkmcnt(0)
	v_cmp_neq_f32_e64 s4, s4, 1.0
.LBB2_4:
	s_delay_alu instid0(VALU_DEP_1)
	s_and_not1_b32 vcc_lo, exec_lo, s4
	s_cbranch_vccnz .LBB2_76
; %bb.5:
	s_load_b32 s4, s[0:1], 0xdf8
	s_waitcnt lgkmcnt(0)
	s_bitcmp1_b32 s4, 0
	s_cselect_b32 s24, -1, 0
	s_and_b32 s4, s16, 0xff
	s_load_b64 s[16:17], s[0:1], 0xdf0
	s_lshl_b32 s6, s4, 3
	s_load_b64 s[4:5], s[0:1], s6 offset:0x600
	s_waitcnt lgkmcnt(0)
	s_load_b32 s4, s[4:5], 0x0
	s_waitcnt lgkmcnt(0)
	v_add_f32_e64 v3, s4, -1.0
	s_clause 0x4
	s_load_b32 s2, s[2:3], 0x8c0
	s_load_b64 s[4:5], s[0:1], s6 offset:0x480
	s_load_b64 s[18:19], s[0:1], s6 offset:0x0
	;; [unrolled: 1-line block ×4, first 2 shown]
	v_cvt_f64_f32_e32 v[3:4], v3
	s_waitcnt lgkmcnt(0)
	s_ashr_i32 s3, s2, 31
	s_delay_alu instid0(SALU_CYCLE_1) | instskip(NEXT) | instid1(VALU_DEP_1)
	s_lshl_b64 s[6:7], s[2:3], 16
	v_fma_f64 v[3:4], v[3:4], s[8:9], 1.0
	s_sub_u32 s8, s4, s6
	s_subb_u32 s9, s5, s7
	s_lshl_b64 s[14:15], s[2:3], 17
	s_delay_alu instid0(SALU_CYCLE_1)
	s_add_u32 s7, s18, s14
	s_addc_u32 s25, s19, s15
	s_and_b32 s2, s7, 7
	s_add_u32 s26, s20, s14
	s_addc_u32 s27, s21, s15
	s_add_u32 s28, s22, s14
	s_addc_u32 s29, s23, s15
	s_or_b32 s3, s28, s26
	s_delay_alu instid0(SALU_CYCLE_1) | instskip(NEXT) | instid1(SALU_CYCLE_1)
	s_and_b32 s3, s3, 7
	s_cmp_lg_u32 s3, 0
	s_mov_b32 s3, 0
	s_cselect_b32 s5, -1, 0
	s_and_b32 s4, s4, 3
	s_delay_alu instid0(SALU_CYCLE_1) | instskip(NEXT) | instid1(SALU_CYCLE_1)
	s_or_b32 s2, s2, s4
	s_cmp_lg_u64 s[2:3], 0
	s_cselect_b32 s2, -1, 0
	s_delay_alu instid0(SALU_CYCLE_1) | instskip(NEXT) | instid1(VALU_DEP_1)
	s_or_b32 s2, s5, s2
	v_div_scale_f64 v[5:6], null, v[3:4], v[3:4], v[1:2]
	v_div_scale_f64 v[11:12], vcc_lo, v[1:2], v[3:4], v[1:2]
	s_delay_alu instid0(VALU_DEP_2) | instskip(SKIP_2) | instid1(VALU_DEP_1)
	v_rcp_f64_e32 v[7:8], v[5:6]
	s_waitcnt_depctr 0xfff
	v_fma_f64 v[9:10], -v[5:6], v[7:8], 1.0
	v_fma_f64 v[7:8], v[7:8], v[9:10], v[7:8]
	s_delay_alu instid0(VALU_DEP_1) | instskip(NEXT) | instid1(VALU_DEP_1)
	v_fma_f64 v[9:10], -v[5:6], v[7:8], 1.0
	v_fma_f64 v[7:8], v[7:8], v[9:10], v[7:8]
	s_delay_alu instid0(VALU_DEP_1) | instskip(NEXT) | instid1(VALU_DEP_1)
	v_mul_f64 v[9:10], v[11:12], v[7:8]
	v_fma_f64 v[5:6], -v[5:6], v[9:10], v[11:12]
	s_delay_alu instid0(VALU_DEP_1) | instskip(SKIP_2) | instid1(VALU_DEP_1)
	v_div_fmas_f64 v[5:6], v[5:6], v[7:8], v[9:10]
	s_and_not1_b32 vcc_lo, exec_lo, s2
	s_mov_b32 s2, -1
	v_div_fixup_f64 v[1:2], v[5:6], v[3:4], v[1:2]
	s_cbranch_vccz .LBB2_22
; %bb.6:
	v_dual_mov_b32 v4, 0 :: v_dual_lshlrev_b32 v3, 2, v0
	s_mov_b32 s30, exec_lo
	s_delay_alu instid0(VALU_DEP_1)
	v_cmpx_gt_i64_e64 s[8:9], v[3:4]
	s_cbranch_execz .LBB2_21
; %bb.7:
	v_cmp_neq_f64_e64 s2, s[10:11], 0
	s_load_b32 s3, s[0:1], 0xe1c
	s_cmp_lg_u64 s[12:13], 0
	s_mov_b32 s33, 0
	s_cselect_b32 s31, -1, 0
	s_waitcnt lgkmcnt(0)
	s_and_b32 s3, s3, 0xffff
	s_delay_alu instid0(SALU_CYCLE_1) | instskip(SKIP_3) | instid1(VALU_DEP_2)
	v_add_lshl_u32 v3, v0, s3, 2
	v_dual_mov_b32 v6, v4 :: v_dual_lshlrev_b32 v19, 3, v0
	s_lshl_b32 s34, s3, 2
	s_lshl_b32 s35, s3, 3
	v_mov_b32_e32 v5, v3
	s_branch .LBB2_9
.LBB2_8:                                ;   in Loop: Header=BB2_9 Depth=1
	v_cmp_le_i64_e32 vcc_lo, s[8:9], v[5:6]
	v_cmp_lt_u64_e64 s3, 0xffff, v[5:6]
	v_cvt_f16_f32_e32 v3, v15
	v_cvt_f16_f32_e32 v9, v21
	;; [unrolled: 1-line block ×4, first 2 shown]
	s_or_b32 s3, vcc_lo, s3
	s_add_u32 s7, s7, s35
	s_addc_u32 s25, s25, 0
	s_add_u32 s28, s28, s35
	v_add_co_u32 v5, vcc_lo, v5, s34
	s_addc_u32 s29, s29, 0
	s_add_u32 s26, s26, s35
	v_pack_b32_f16 v10, v3, v10
	v_pack_b32_f16 v9, v11, v9
	v_add_co_ci_u32_e32 v6, vcc_lo, 0, v6, vcc_lo
	s_addc_u32 s27, s27, 0
	s_and_b32 s3, exec_lo, s3
	global_store_b64 v[7:8], v[9:10], off
	s_or_b32 s33, s3, s33
	s_delay_alu instid0(SALU_CYCLE_1)
	s_and_not1_b32 exec_lo, exec_lo, s33
	s_cbranch_execz .LBB2_21
.LBB2_9:                                ; =>This Inner Loop Header: Depth=1
	v_add_co_u32 v11, s3, s26, v19
	s_delay_alu instid0(VALU_DEP_1) | instskip(SKIP_1) | instid1(VALU_DEP_1)
	v_add_co_ci_u32_e64 v12, null, s27, 0, s3
	v_add_co_u32 v9, s3, s7, v19
	v_add_co_ci_u32_e64 v10, null, s25, 0, s3
	v_add_co_u32 v7, s3, s28, v19
	global_load_b64 v[17:18], v[11:12], off
	v_add_co_ci_u32_e64 v8, null, s29, 0, s3
	global_load_b64 v[15:16], v[9:10], off
	global_load_b64 v[13:14], v[7:8], off
	s_and_not1_b32 vcc_lo, exec_lo, s31
	s_waitcnt vmcnt(2)
	v_cvt_f32_f16_e32 v3, v17
	s_cbranch_vccnz .LBB2_11
; %bb.10:                               ;   in Loop: Header=BB2_9 Depth=1
	global_load_b32 v20, v4, s[12:13]
	s_waitcnt vmcnt(0)
	v_div_scale_f32 v21, null, v20, v20, v3
	s_delay_alu instid0(VALU_DEP_1) | instskip(SKIP_2) | instid1(VALU_DEP_1)
	v_rcp_f32_e32 v22, v21
	s_waitcnt_depctr 0xfff
	v_fma_f32 v23, -v21, v22, 1.0
	v_fmac_f32_e32 v22, v23, v22
	v_div_scale_f32 v23, vcc_lo, v3, v20, v3
	s_delay_alu instid0(VALU_DEP_1) | instskip(NEXT) | instid1(VALU_DEP_1)
	v_mul_f32_e32 v24, v23, v22
	v_fma_f32 v25, -v21, v24, v23
	s_delay_alu instid0(VALU_DEP_1) | instskip(NEXT) | instid1(VALU_DEP_1)
	v_fmac_f32_e32 v24, v25, v22
	v_fma_f32 v21, -v21, v24, v23
	s_delay_alu instid0(VALU_DEP_1) | instskip(NEXT) | instid1(VALU_DEP_1)
	v_div_fmas_f32 v21, v21, v22, v24
	v_div_fixup_f32 v3, v21, v20, v3
.LBB2_11:                               ;   in Loop: Header=BB2_9 Depth=1
	v_lshrrev_b32_e32 v17, 16, v17
	s_and_not1_b32 vcc_lo, exec_lo, s31
	s_delay_alu instid0(VALU_DEP_1)
	v_cvt_f32_f16_e32 v17, v17
	s_cbranch_vccnz .LBB2_13
; %bb.12:                               ;   in Loop: Header=BB2_9 Depth=1
	global_load_b32 v20, v4, s[12:13]
	s_waitcnt vmcnt(0)
	v_div_scale_f32 v21, null, v20, v20, v17
	s_delay_alu instid0(VALU_DEP_1) | instskip(SKIP_2) | instid1(VALU_DEP_1)
	v_rcp_f32_e32 v22, v21
	s_waitcnt_depctr 0xfff
	v_fma_f32 v23, -v21, v22, 1.0
	v_fmac_f32_e32 v22, v23, v22
	v_div_scale_f32 v23, vcc_lo, v17, v20, v17
	s_delay_alu instid0(VALU_DEP_1) | instskip(NEXT) | instid1(VALU_DEP_1)
	v_mul_f32_e32 v24, v23, v22
	v_fma_f32 v25, -v21, v24, v23
	s_delay_alu instid0(VALU_DEP_1) | instskip(NEXT) | instid1(VALU_DEP_1)
	v_fmac_f32_e32 v24, v25, v22
	v_fma_f32 v21, -v21, v24, v23
	s_delay_alu instid0(VALU_DEP_1) | instskip(NEXT) | instid1(VALU_DEP_1)
	v_div_fmas_f32 v21, v21, v22, v24
	v_div_fixup_f32 v17, v21, v20, v17
.LBB2_13:                               ;   in Loop: Header=BB2_9 Depth=1
	v_cvt_f32_f16_e32 v20, v18
	s_and_not1_b32 vcc_lo, exec_lo, s31
	s_cbranch_vccnz .LBB2_15
; %bb.14:                               ;   in Loop: Header=BB2_9 Depth=1
	global_load_b32 v21, v4, s[12:13]
	s_waitcnt vmcnt(0)
	v_div_scale_f32 v22, null, v21, v21, v20
	s_delay_alu instid0(VALU_DEP_1) | instskip(SKIP_2) | instid1(VALU_DEP_1)
	v_rcp_f32_e32 v23, v22
	s_waitcnt_depctr 0xfff
	v_fma_f32 v24, -v22, v23, 1.0
	v_fmac_f32_e32 v23, v24, v23
	v_div_scale_f32 v24, vcc_lo, v20, v21, v20
	s_delay_alu instid0(VALU_DEP_1) | instskip(NEXT) | instid1(VALU_DEP_1)
	v_mul_f32_e32 v25, v24, v23
	v_fma_f32 v26, -v22, v25, v24
	s_delay_alu instid0(VALU_DEP_1) | instskip(NEXT) | instid1(VALU_DEP_1)
	v_fmac_f32_e32 v25, v26, v23
	v_fma_f32 v22, -v22, v25, v24
	s_delay_alu instid0(VALU_DEP_1) | instskip(NEXT) | instid1(VALU_DEP_1)
	v_div_fmas_f32 v22, v22, v23, v25
	v_div_fixup_f32 v20, v22, v21, v20
.LBB2_15:                               ;   in Loop: Header=BB2_9 Depth=1
	v_lshrrev_b32_e32 v18, 16, v18
	s_and_not1_b32 vcc_lo, exec_lo, s31
	s_delay_alu instid0(VALU_DEP_1)
	v_cvt_f32_f16_e32 v18, v18
	s_cbranch_vccnz .LBB2_17
; %bb.16:                               ;   in Loop: Header=BB2_9 Depth=1
	global_load_b32 v21, v4, s[12:13]
	s_waitcnt vmcnt(0)
	v_div_scale_f32 v22, null, v21, v21, v18
	s_delay_alu instid0(VALU_DEP_1) | instskip(SKIP_2) | instid1(VALU_DEP_1)
	v_rcp_f32_e32 v23, v22
	s_waitcnt_depctr 0xfff
	v_fma_f32 v24, -v22, v23, 1.0
	v_fmac_f32_e32 v23, v24, v23
	v_div_scale_f32 v24, vcc_lo, v18, v21, v18
	s_delay_alu instid0(VALU_DEP_1) | instskip(NEXT) | instid1(VALU_DEP_1)
	v_mul_f32_e32 v25, v24, v23
	v_fma_f32 v26, -v22, v25, v24
	s_delay_alu instid0(VALU_DEP_1) | instskip(NEXT) | instid1(VALU_DEP_1)
	v_fmac_f32_e32 v25, v26, v23
	v_fma_f32 v22, -v22, v25, v24
	s_delay_alu instid0(VALU_DEP_1) | instskip(NEXT) | instid1(VALU_DEP_1)
	v_div_fmas_f32 v22, v22, v23, v25
	v_div_fixup_f32 v18, v22, v21, v18
.LBB2_17:                               ;   in Loop: Header=BB2_9 Depth=1
	s_waitcnt vmcnt(1)
	v_cvt_f32_f16_e32 v21, v16
	v_cndmask_b32_e64 v35, v20, -v20, s24
	v_lshrrev_b32_e32 v25, 16, v15
	v_cvt_f32_f16_e32 v15, v15
	v_cndmask_b32_e64 v36, v3, -v3, s24
	v_cvt_f64_f32_e32 v[23:24], v21
	v_cvt_f64_f32_e32 v[21:22], v35
	v_cndmask_b32_e64 v37, v17, -v17, s24
	v_lshrrev_b32_e32 v27, 16, v16
	v_cvt_f32_f16_e32 v28, v25
	v_cvt_f64_f32_e32 v[25:26], v15
	v_cvt_f64_f32_e32 v[15:16], v36
	v_cndmask_b32_e64 v38, v18, -v18, s24
	v_cvt_f32_f16_e32 v33, v27
	v_cvt_f64_f32_e32 v[27:28], v28
	v_cvt_f64_f32_e32 v[29:30], v37
	s_delay_alu instid0(VALU_DEP_4) | instskip(NEXT) | instid1(VALU_DEP_4)
	v_cvt_f64_f32_e32 v[31:32], v38
	v_cvt_f64_f32_e32 v[33:34], v33
	v_fma_f64 v[21:22], v[23:24], s[10:11], v[21:22]
	v_fma_f64 v[15:16], v[25:26], s[10:11], v[15:16]
	;; [unrolled: 1-line block ×3, first 2 shown]
	s_delay_alu instid0(VALU_DEP_4) | instskip(NEXT) | instid1(VALU_DEP_4)
	v_fma_f64 v[31:32], v[33:34], s[10:11], v[31:32]
	v_cvt_f32_f64_e32 v21, v[21:22]
	s_delay_alu instid0(VALU_DEP_4) | instskip(NEXT) | instid1(VALU_DEP_4)
	v_cvt_f32_f64_e32 v15, v[15:16]
	v_cvt_f32_f64_e32 v16, v[29:30]
	s_delay_alu instid0(VALU_DEP_4) | instskip(NEXT) | instid1(VALU_DEP_4)
	v_cvt_f32_f64_e32 v22, v[31:32]
	v_cndmask_b32_e64 v29, v35, v21, s2
	s_delay_alu instid0(VALU_DEP_4) | instskip(SKIP_1) | instid1(VALU_DEP_2)
	v_cndmask_b32_e64 v39, v36, v15, s2
	s_waitcnt vmcnt(0)
	v_fma_mix_f32 v15, v29, v29, v14 op_sel_hi:[0,0,1]
	v_cndmask_b32_e64 v30, v37, v16, s2
	s_delay_alu instid0(VALU_DEP_3) | instskip(NEXT) | instid1(VALU_DEP_3)
	v_fma_mix_f32 v16, v39, v39, v13 op_sel_hi:[0,0,1]
	v_cmp_gt_f32_e32 vcc_lo, 0xf800000, v15
	v_cndmask_b32_e64 v41, v38, v22, s2
	s_delay_alu instid0(VALU_DEP_4) | instskip(SKIP_2) | instid1(VALU_DEP_4)
	v_fma_mix_f32 v21, v30, v30, v13 op_sel:[0,0,1] op_sel_hi:[0,0,1]
	v_mul_f32_e32 v31, 0x4f800000, v15
	v_mul_f32_e32 v13, 0x4f800000, v16
	v_fma_mix_f32 v22, v41, v41, v14 op_sel:[0,0,1] op_sel_hi:[0,0,1]
	v_cmp_gt_f32_e64 s3, 0xf800000, v16
	s_delay_alu instid0(VALU_DEP_4) | instskip(SKIP_1) | instid1(VALU_DEP_4)
	v_dual_mul_f32 v14, 0x4f800000, v21 :: v_dual_cndmask_b32 v31, v15, v31
	v_cmp_gt_f32_e64 s4, 0xf800000, v21
	v_cmp_gt_f32_e64 s5, 0xf800000, v22
	s_delay_alu instid0(VALU_DEP_4) | instskip(NEXT) | instid1(VALU_DEP_4)
	v_cndmask_b32_e64 v35, v16, v13, s3
	v_sqrt_f32_e32 v32, v31
	s_delay_alu instid0(VALU_DEP_3) | instskip(NEXT) | instid1(VALU_DEP_2)
	v_cndmask_b32_e64 v36, v21, v14, s4
	v_sqrt_f32_e32 v37, v35
	s_delay_alu instid0(VALU_DEP_1) | instskip(SKIP_1) | instid1(TRANS32_DEP_3)
	v_sqrt_f32_e32 v40, v36
	v_mul_f32_e32 v13, 0x4f800000, v22
	v_add_nc_u32_e32 v43, -1, v32
	v_add_nc_u32_e32 v44, 1, v32
	s_delay_alu instid0(VALU_DEP_2)
	v_fma_f32 v46, -v43, v32, v31
	s_waitcnt_depctr 0xfff
	v_add_nc_u32_e32 v48, -1, v40
	v_cndmask_b32_e64 v38, v22, v13, s5
	v_cvt_f64_f32_e32 v[13:14], v29
	v_add_nc_u32_e32 v29, -1, v37
	v_cmp_ge_f32_e64 s6, 0, v46
	v_fma_f32 v47, -v44, v32, v31
	v_add_nc_u32_e32 v49, 1, v40
	v_sqrt_f32_e32 v42, v38
	v_fma_f32 v50, -v29, v37, v35
	v_cndmask_b32_e64 v32, v32, v43, s6
	v_fma_f32 v43, -v48, v40, v36
	v_fma_f32 v46, -v49, v40, v36
	s_delay_alu instid0(VALU_DEP_4) | instskip(SKIP_4) | instid1(VALU_DEP_1)
	v_cmp_ge_f32_e64 s6, 0, v50
	s_waitcnt_depctr 0xfff
	v_add_nc_u32_e32 v52, -1, v42
	v_cndmask_b32_e64 v29, v37, v29, s6
	v_cmp_ge_f32_e64 s6, 0, v43
	v_cndmask_b32_e64 v40, v40, v48, s6
	v_cmp_lt_f32_e64 s6, 0, v47
	s_delay_alu instid0(VALU_DEP_1) | instskip(NEXT) | instid1(VALU_DEP_1)
	v_cndmask_b32_e64 v32, v32, v44, s6
	v_mul_f32_e32 v43, 0x37800000, v32
	s_delay_alu instid0(VALU_DEP_1) | instskip(NEXT) | instid1(VALU_DEP_1)
	v_dual_cndmask_b32 v32, v32, v43 :: v_dual_add_nc_u32 v45, 1, v37
	v_fma_f32 v51, -v45, v37, v35
	v_fma_f32 v37, -v52, v42, v38
	v_cmp_class_f32_e64 vcc_lo, v31, 0x260
	v_mul_f64 v[13:14], v[1:2], v[13:14]
	s_delay_alu instid0(VALU_DEP_3) | instskip(SKIP_2) | instid1(VALU_DEP_3)
	v_cmp_ge_f32_e64 s6, 0, v37
	v_cndmask_b32_e32 v31, v32, v31, vcc_lo
	v_cmp_class_f32_e64 vcc_lo, v36, 0x260
	v_cndmask_b32_e64 v37, v42, v52, s6
	v_cmp_lt_f32_e64 s6, 0, v46
	s_delay_alu instid0(VALU_DEP_4) | instskip(NEXT) | instid1(VALU_DEP_2)
	v_cvt_f64_f32_e32 v[31:32], v31
	v_cndmask_b32_e64 v40, v40, v49, s6
	v_cmp_lt_f32_e64 s6, 0, v51
	s_delay_alu instid0(VALU_DEP_2) | instskip(NEXT) | instid1(VALU_DEP_1)
	v_mul_f32_e32 v44, 0x37800000, v40
	v_cndmask_b32_e64 v40, v40, v44, s4
	s_delay_alu instid0(VALU_DEP_1) | instskip(NEXT) | instid1(VALU_DEP_1)
	v_dual_cndmask_b32 v36, v40, v36 :: v_dual_add_nc_u32 v53, 1, v42
	v_fma_f32 v50, -v53, v42, v38
	v_cndmask_b32_e64 v42, v29, v45, s6
	v_cmp_class_f32_e64 vcc_lo, v35, 0x260
	v_cvt_f64_f32_e32 v[29:30], v30
	s_delay_alu instid0(VALU_DEP_4) | instskip(NEXT) | instid1(VALU_DEP_4)
	v_cmp_lt_f32_e64 s6, 0, v50
	v_mul_f32_e32 v43, 0x37800000, v42
	s_delay_alu instid0(VALU_DEP_2) | instskip(NEXT) | instid1(VALU_DEP_2)
	v_cndmask_b32_e64 v37, v37, v53, s6
	v_cndmask_b32_e64 v42, v42, v43, s3
	s_delay_alu instid0(VALU_DEP_1) | instskip(SKIP_3) | instid1(VALU_DEP_4)
	v_dual_mul_f32 v45, 0x37800000, v37 :: v_dual_cndmask_b32 v40, v42, v35
	v_cmp_class_f32_e64 vcc_lo, v38, 0x260
	v_cvt_f64_f32_e32 v[35:36], v36
	v_cvt_f64_f32_e32 v[41:42], v41
	v_cndmask_b32_e64 v37, v37, v45, s5
	v_add_f64 v[31:32], v[31:32], s[16:17]
	s_delay_alu instid0(VALU_DEP_2) | instskip(SKIP_2) | instid1(VALU_DEP_3)
	v_cndmask_b32_e32 v43, v37, v38, vcc_lo
	v_cvt_f64_f32_e32 v[37:38], v39
	v_cvt_f64_f32_e32 v[39:40], v40
	;; [unrolled: 1-line block ×3, first 2 shown]
	v_mul_f64 v[29:30], v[1:2], v[29:30]
	v_add_f64 v[35:36], v[35:36], s[16:17]
	v_mul_f64 v[41:42], v[1:2], v[41:42]
	v_div_scale_f64 v[45:46], null, v[31:32], v[31:32], v[13:14]
	v_div_scale_f64 v[69:70], vcc_lo, v[13:14], v[31:32], v[13:14]
	v_mul_f64 v[37:38], v[1:2], v[37:38]
	v_add_f64 v[39:40], v[39:40], s[16:17]
	v_add_f64 v[43:44], v[43:44], s[16:17]
	v_div_scale_f64 v[47:48], null, v[35:36], v[35:36], v[29:30]
	v_rcp_f64_e32 v[53:54], v[45:46]
	s_delay_alu instid0(VALU_DEP_3) | instskip(NEXT) | instid1(VALU_DEP_3)
	v_div_scale_f64 v[49:50], null, v[39:40], v[39:40], v[37:38]
	v_div_scale_f64 v[51:52], null, v[43:44], v[43:44], v[41:42]
	s_delay_alu instid0(VALU_DEP_3)
	v_rcp_f64_e32 v[55:56], v[47:48]
	s_waitcnt_depctr 0xfff
	v_fma_f64 v[61:62], -v[45:46], v[53:54], 1.0
	v_rcp_f64_e32 v[57:58], v[49:50]
	v_rcp_f64_e32 v[59:60], v[51:52]
	v_fma_f64 v[63:64], -v[47:48], v[55:56], 1.0
	s_delay_alu instid0(VALU_DEP_2)
	v_fma_f64 v[53:54], v[53:54], v[61:62], v[53:54]
	s_waitcnt_depctr 0xfff
	v_fma_f64 v[65:66], -v[49:50], v[57:58], 1.0
	v_fma_f64 v[67:68], -v[51:52], v[59:60], 1.0
	v_fma_f64 v[55:56], v[55:56], v[63:64], v[55:56]
	v_fma_f64 v[61:62], -v[45:46], v[53:54], 1.0
	s_delay_alu instid0(VALU_DEP_4) | instskip(NEXT) | instid1(VALU_DEP_4)
	v_fma_f64 v[57:58], v[57:58], v[65:66], v[57:58]
	v_fma_f64 v[59:60], v[59:60], v[67:68], v[59:60]
	s_delay_alu instid0(VALU_DEP_4) | instskip(NEXT) | instid1(VALU_DEP_4)
	v_fma_f64 v[63:64], -v[47:48], v[55:56], 1.0
	v_fma_f64 v[53:54], v[53:54], v[61:62], v[53:54]
	v_div_scale_f64 v[61:62], s3, v[29:30], v[35:36], v[29:30]
	v_fma_f64 v[65:66], -v[49:50], v[57:58], 1.0
	v_fma_f64 v[67:68], -v[51:52], v[59:60], 1.0
	v_fma_f64 v[55:56], v[55:56], v[63:64], v[55:56]
	v_div_scale_f64 v[63:64], s4, v[37:38], v[39:40], v[37:38]
	s_delay_alu instid0(VALU_DEP_4)
	v_fma_f64 v[57:58], v[57:58], v[65:66], v[57:58]
	v_div_scale_f64 v[65:66], s5, v[41:42], v[43:44], v[41:42]
	v_fma_f64 v[59:60], v[59:60], v[67:68], v[59:60]
	v_mul_f64 v[67:68], v[69:70], v[53:54]
	v_mul_f64 v[71:72], v[61:62], v[55:56]
	;; [unrolled: 1-line block ×3, first 2 shown]
	s_delay_alu instid0(VALU_DEP_4) | instskip(NEXT) | instid1(VALU_DEP_4)
	v_mul_f64 v[75:76], v[65:66], v[59:60]
	v_fma_f64 v[45:46], -v[45:46], v[67:68], v[69:70]
	s_delay_alu instid0(VALU_DEP_4) | instskip(NEXT) | instid1(VALU_DEP_4)
	v_fma_f64 v[47:48], -v[47:48], v[71:72], v[61:62]
	v_fma_f64 v[49:50], -v[49:50], v[73:74], v[63:64]
	s_delay_alu instid0(VALU_DEP_4) | instskip(NEXT) | instid1(VALU_DEP_4)
	v_fma_f64 v[51:52], -v[51:52], v[75:76], v[65:66]
	v_div_fmas_f64 v[45:46], v[45:46], v[53:54], v[67:68]
	s_mov_b32 vcc_lo, s3
	s_delay_alu instid0(VALU_DEP_4) | instskip(SKIP_1) | instid1(VALU_DEP_4)
	v_div_fmas_f64 v[47:48], v[47:48], v[55:56], v[71:72]
	s_mov_b32 vcc_lo, s4
	v_div_fmas_f64 v[49:50], v[49:50], v[57:58], v[73:74]
	s_mov_b32 vcc_lo, s5
	s_delay_alu instid0(VALU_DEP_4) | instskip(NEXT) | instid1(VALU_DEP_4)
	v_div_fmas_f64 v[51:52], v[51:52], v[59:60], v[75:76]
	v_div_fixup_f64 v[13:14], v[45:46], v[31:32], v[13:14]
	s_and_not1_b32 vcc_lo, exec_lo, s31
	s_delay_alu instid0(VALU_DEP_4) | instskip(NEXT) | instid1(VALU_DEP_4)
	v_div_fixup_f64 v[29:30], v[47:48], v[35:36], v[29:30]
	v_div_fixup_f64 v[35:36], v[49:50], v[39:40], v[37:38]
	s_delay_alu instid0(VALU_DEP_4) | instskip(NEXT) | instid1(VALU_DEP_4)
	v_div_fixup_f64 v[31:32], v[51:52], v[43:44], v[41:42]
	v_add_f64 v[13:14], v[23:24], -v[13:14]
	s_delay_alu instid0(VALU_DEP_4) | instskip(NEXT) | instid1(VALU_DEP_4)
	v_add_f64 v[23:24], v[27:28], -v[29:30]
	v_add_f64 v[25:26], v[25:26], -v[35:36]
	s_delay_alu instid0(VALU_DEP_4) | instskip(NEXT) | instid1(VALU_DEP_4)
	v_add_f64 v[27:28], v[33:34], -v[31:32]
	v_cvt_f32_f64_e32 v13, v[13:14]
	s_delay_alu instid0(VALU_DEP_4) | instskip(NEXT) | instid1(VALU_DEP_4)
	v_cvt_f32_f64_e32 v14, v[23:24]
	v_cvt_f32_f64_e32 v24, v[25:26]
	s_delay_alu instid0(VALU_DEP_4) | instskip(NEXT) | instid1(VALU_DEP_4)
	v_cvt_f32_f64_e32 v23, v[27:28]
	v_cvt_f16_f32_e32 v13, v13
	s_delay_alu instid0(VALU_DEP_4) | instskip(NEXT) | instid1(VALU_DEP_3)
	v_cvt_f16_f32_e32 v25, v14
	v_cvt_f16_f32_e32 v14, v23
	;; [unrolled: 1-line block ×3, first 2 shown]
	s_delay_alu instid0(VALU_DEP_2) | instskip(NEXT) | instid1(VALU_DEP_2)
	v_perm_b32 v14, v14, v13, 0x5040100
	v_perm_b32 v13, v25, v23, 0x5040100
	s_cbranch_vccnz .LBB2_19
; %bb.18:                               ;   in Loop: Header=BB2_9 Depth=1
	v_cvt_f16_f32_e32 v20, v20
	v_cvt_f16_f32_e32 v17, v17
	v_cvt_f16_f32_e32 v18, v18
	v_cvt_f16_f32_e32 v3, v3
	global_store_b64 v[9:10], v[13:14], off
	v_pack_b32_f16 v18, v20, v18
	v_pack_b32_f16 v17, v3, v17
	global_store_b64 v[11:12], v[17:18], off
	s_cbranch_execnz .LBB2_8
	s_branch .LBB2_20
.LBB2_19:                               ;   in Loop: Header=BB2_9 Depth=1
.LBB2_20:                               ;   in Loop: Header=BB2_9 Depth=1
	global_store_b64 v[9:10], v[13:14], off
	s_branch .LBB2_8
.LBB2_21:
	s_or_b32 exec_lo, exec_lo, s30
	s_mov_b32 s2, 0
.LBB2_22:
	s_delay_alu instid0(SALU_CYCLE_1)
	s_and_not1_b32 vcc_lo, exec_lo, s2
	s_cbranch_vccnz .LBB2_76
; %bb.23:
	v_cmp_lt_i64_e64 s2, s[8:9], 1
	s_delay_alu instid0(VALU_DEP_1)
	s_and_b32 vcc_lo, exec_lo, s2
	s_cbranch_vccnz .LBB2_76
; %bb.24:
	s_load_b32 s1, s[0:1], 0xe1c
	v_dual_mov_b32 v4, 0 :: v_dual_lshlrev_b32 v3, 1, v0
	v_cmp_gt_u64_e64 s2, 0x10000, s[8:9]
	v_cmp_neq_f64_e64 s0, s[10:11], 0
	s_delay_alu instid0(VALU_DEP_3) | instskip(NEXT) | instid1(VALU_DEP_1)
	v_add_co_u32 v5, s3, s18, v3
	v_add_co_ci_u32_e64 v6, null, s19, 0, s3
	v_add_co_u32 v7, s3, s20, v3
	s_delay_alu instid0(VALU_DEP_1) | instskip(SKIP_1) | instid1(VALU_DEP_1)
	v_add_co_ci_u32_e64 v8, null, s21, 0, s3
	v_add_co_u32 v9, s3, s22, v3
	v_add_co_ci_u32_e64 v10, null, s23, 0, s3
	s_waitcnt lgkmcnt(0)
	s_and_b32 s1, s1, 0xffff
	s_and_b32 s2, s2, exec_lo
	v_mad_u64_u32 v[15:16], null, s1, 6, v[3:4]
	s_cselect_b32 s7, s9, 0
	s_cselect_b32 s6, s8, 0x10000
	s_lshl_b32 s2, s1, 1
	s_cmp_lg_u64 s[12:13], 0
	s_mul_i32 s3, s1, 3
	s_cselect_b32 s25, -1, 0
	s_delay_alu instid0(VALU_DEP_1)
	v_add_co_u32 v11, vcc_lo, s18, v15
	s_lshl_b32 s26, s1, 2
	v_add_co_ci_u32_e32 v12, vcc_lo, s19, v16, vcc_lo
	v_add_co_u32 v13, vcc_lo, s20, v15
	v_add_co_u32 v3, s4, s26, v3
	v_add_co_ci_u32_e32 v14, vcc_lo, s21, v16, vcc_lo
	v_add_co_u32 v15, vcc_lo, s22, v15
	v_add_co_ci_u32_e64 v4, null, 0, 0, s4
	v_add_co_ci_u32_e32 v16, vcc_lo, s23, v16, vcc_lo
	v_add_co_u32 v17, s3, s3, v0
	v_add_co_u32 v19, vcc_lo, s18, v3
	v_add_co_ci_u32_e64 v18, null, 0, 0, s3
	v_add_co_u32 v23, s3, v0, s1
	v_add_co_ci_u32_e32 v20, vcc_lo, s19, v4, vcc_lo
	v_add_co_u32 v21, vcc_lo, s20, v3
	v_add_co_ci_u32_e32 v22, vcc_lo, s21, v4, vcc_lo
	v_add_co_u32 v24, vcc_lo, s22, v3
	v_lshlrev_b32_e32 v3, 1, v23
	v_add_co_u32 v27, s2, s2, v0
	s_delay_alu instid0(VALU_DEP_1) | instskip(NEXT) | instid1(VALU_DEP_3)
	v_add_co_ci_u32_e64 v28, null, 0, 0, s2
	v_add_co_u32 v29, s2, s18, v3
	s_delay_alu instid0(VALU_DEP_1) | instskip(SKIP_1) | instid1(VALU_DEP_1)
	v_add_co_ci_u32_e64 v30, null, s19, 0, s2
	v_add_co_u32 v31, s2, s20, v3
	v_add_co_ci_u32_e64 v32, null, s21, 0, s2
	v_add_co_u32 v33, s2, s22, v3
	v_add_co_ci_u32_e32 v25, vcc_lo, s23, v4, vcc_lo
	v_add_co_ci_u32_e64 v26, null, 0, 0, s3
	v_add_co_ci_u32_e64 v34, null, s23, 0, s2
	s_mov_b64 s[18:19], 0
	s_lshl_b32 s20, s1, 3
	s_branch .LBB2_26
.LBB2_25:                               ;   in Loop: Header=BB2_26 Depth=1
	s_or_b32 exec_lo, exec_lo, s1
	v_add_co_u32 v5, vcc_lo, v5, s20
	v_add_co_ci_u32_e32 v6, vcc_lo, 0, v6, vcc_lo
	v_add_co_u32 v7, vcc_lo, v7, s20
	v_add_co_ci_u32_e32 v8, vcc_lo, 0, v8, vcc_lo
	;; [unrolled: 2-line block ×9, first 2 shown]
	s_add_u32 s18, s18, s26
	v_add_co_u32 v29, vcc_lo, v29, s20
	s_addc_u32 s19, s19, 0
	v_add_co_ci_u32_e32 v30, vcc_lo, 0, v30, vcc_lo
	v_cmp_ge_i64_e64 s1, s[18:19], s[8:9]
	v_cmp_lt_u64_e64 s2, 0xffff, s[18:19]
	v_add_co_u32 v31, vcc_lo, v31, s20
	v_add_co_ci_u32_e32 v32, vcc_lo, 0, v32, vcc_lo
	v_add_co_u32 v33, vcc_lo, v33, s20
	v_add_co_ci_u32_e32 v34, vcc_lo, 0, v34, vcc_lo
	s_or_b32 s1, s1, s2
	s_delay_alu instid0(SALU_CYCLE_1)
	s_and_b32 vcc_lo, exec_lo, s1
	s_cbranch_vccnz .LBB2_76
.LBB2_26:                               ; =>This Inner Loop Header: Depth=1
	v_add_co_u32 v3, s1, v0, s18
	s_delay_alu instid0(VALU_DEP_1) | instskip(NEXT) | instid1(VALU_DEP_1)
	v_add_co_ci_u32_e64 v4, null, 0, s19, s1
	v_cmp_gt_u64_e64 s1, s[6:7], v[3:4]
	v_dual_mov_b32 v3, 0 :: v_dual_mov_b32 v4, 0
	s_delay_alu instid0(VALU_DEP_2)
	s_and_saveexec_b32 s2, s1
	s_cbranch_execz .LBB2_28
; %bb.27:                               ;   in Loop: Header=BB2_26 Depth=1
	v_add_co_u32 v3, vcc_lo, v5, s14
	v_add_co_ci_u32_e32 v4, vcc_lo, s15, v6, vcc_lo
	v_add_co_u32 v35, vcc_lo, v7, s14
	v_add_co_ci_u32_e32 v36, vcc_lo, s15, v8, vcc_lo
	global_load_u16 v3, v[3:4], off
	global_load_u16 v4, v[35:36], off
.LBB2_28:                               ;   in Loop: Header=BB2_26 Depth=1
	s_or_b32 exec_lo, exec_lo, s2
	v_mov_b32_e32 v41, 0
	v_mov_b32_e32 v43, 0
	s_and_saveexec_b32 s2, s1
	s_cbranch_execz .LBB2_30
; %bb.29:                               ;   in Loop: Header=BB2_26 Depth=1
	v_add_co_u32 v35, vcc_lo, v9, s14
	v_add_co_ci_u32_e32 v36, vcc_lo, s15, v10, vcc_lo
	global_load_u16 v43, v[35:36], off
.LBB2_30:                               ;   in Loop: Header=BB2_26 Depth=1
	s_or_b32 exec_lo, exec_lo, s2
	v_add_co_u32 v35, vcc_lo, v23, s18
	v_add_co_ci_u32_e32 v36, vcc_lo, s19, v26, vcc_lo
	s_delay_alu instid0(VALU_DEP_1) | instskip(SKIP_1) | instid1(VALU_DEP_2)
	v_cmp_gt_u64_e64 s2, s[6:7], v[35:36]
	v_mov_b32_e32 v36, 0
	s_and_saveexec_b32 s3, s2
	s_cbranch_execz .LBB2_32
; %bb.31:                               ;   in Loop: Header=BB2_26 Depth=1
	v_add_co_u32 v35, vcc_lo, v29, s14
	v_add_co_ci_u32_e32 v36, vcc_lo, s15, v30, vcc_lo
	v_add_co_u32 v37, vcc_lo, v31, s14
	v_add_co_ci_u32_e32 v38, vcc_lo, s15, v32, vcc_lo
	global_load_u16 v41, v[35:36], off
	global_load_u16 v36, v[37:38], off
.LBB2_32:                               ;   in Loop: Header=BB2_26 Depth=1
	s_or_b32 exec_lo, exec_lo, s3
	v_mov_b32_e32 v39, 0
	v_mov_b32_e32 v45, 0
	s_and_saveexec_b32 s3, s2
	s_cbranch_execz .LBB2_34
; %bb.33:                               ;   in Loop: Header=BB2_26 Depth=1
	v_add_co_u32 v37, vcc_lo, v33, s14
	v_add_co_ci_u32_e32 v38, vcc_lo, s15, v34, vcc_lo
	global_load_u16 v45, v[37:38], off
.LBB2_34:                               ;   in Loop: Header=BB2_26 Depth=1
	s_or_b32 exec_lo, exec_lo, s3
	v_add_co_u32 v37, vcc_lo, v27, s18
	v_add_co_ci_u32_e32 v38, vcc_lo, s19, v28, vcc_lo
	s_delay_alu instid0(VALU_DEP_1) | instskip(SKIP_1) | instid1(VALU_DEP_2)
	v_cmp_gt_u64_e64 s3, s[6:7], v[37:38]
	v_mov_b32_e32 v38, 0
	s_and_saveexec_b32 s4, s3
	s_cbranch_execz .LBB2_36
; %bb.35:                               ;   in Loop: Header=BB2_26 Depth=1
	v_add_co_u32 v37, vcc_lo, v19, s14
	v_add_co_ci_u32_e32 v38, vcc_lo, s15, v20, vcc_lo
	v_add_co_u32 v46, vcc_lo, v21, s14
	v_add_co_ci_u32_e32 v47, vcc_lo, s15, v22, vcc_lo
	global_load_u16 v39, v[37:38], off
	global_load_u16 v38, v[46:47], off
.LBB2_36:                               ;   in Loop: Header=BB2_26 Depth=1
	s_or_b32 exec_lo, exec_lo, s4
	v_dual_mov_b32 v37, 0 :: v_dual_mov_b32 v44, 0
	s_and_saveexec_b32 s4, s3
	s_cbranch_execz .LBB2_38
; %bb.37:                               ;   in Loop: Header=BB2_26 Depth=1
	v_add_co_u32 v46, vcc_lo, v24, s14
	v_add_co_ci_u32_e32 v47, vcc_lo, s15, v25, vcc_lo
	global_load_u16 v44, v[46:47], off
.LBB2_38:                               ;   in Loop: Header=BB2_26 Depth=1
	s_or_b32 exec_lo, exec_lo, s4
	v_add_co_u32 v46, vcc_lo, v17, s18
	v_add_co_ci_u32_e32 v47, vcc_lo, s19, v18, vcc_lo
	v_mov_b32_e32 v40, 0
	s_delay_alu instid0(VALU_DEP_2) | instskip(NEXT) | instid1(VALU_DEP_1)
	v_cmp_gt_u64_e64 s4, s[6:7], v[46:47]
	s_and_saveexec_b32 s5, s4
	s_cbranch_execnz .LBB2_67
; %bb.39:                               ;   in Loop: Header=BB2_26 Depth=1
	s_or_b32 exec_lo, exec_lo, s5
	v_mov_b32_e32 v42, 0
	s_and_saveexec_b32 s5, s4
	s_cbranch_execnz .LBB2_68
.LBB2_40:                               ;   in Loop: Header=BB2_26 Depth=1
	s_or_b32 exec_lo, exec_lo, s5
	s_waitcnt vmcnt(0)
	v_cvt_f32_f16_e32 v35, v4
	s_and_not1_b32 vcc_lo, exec_lo, s25
	s_cbranch_vccnz .LBB2_42
.LBB2_41:                               ;   in Loop: Header=BB2_26 Depth=1
	s_load_b32 s5, s[12:13], 0x0
	s_waitcnt lgkmcnt(0)
	v_div_scale_f32 v4, null, s5, s5, v35
	s_delay_alu instid0(VALU_DEP_1) | instskip(SKIP_2) | instid1(VALU_DEP_1)
	v_rcp_f32_e32 v46, v4
	s_waitcnt_depctr 0xfff
	v_fma_f32 v47, -v4, v46, 1.0
	v_fmac_f32_e32 v46, v47, v46
	v_div_scale_f32 v47, vcc_lo, v35, s5, v35
	s_delay_alu instid0(VALU_DEP_1) | instskip(NEXT) | instid1(VALU_DEP_1)
	v_mul_f32_e32 v48, v47, v46
	v_fma_f32 v49, -v4, v48, v47
	s_delay_alu instid0(VALU_DEP_1) | instskip(NEXT) | instid1(VALU_DEP_1)
	v_fmac_f32_e32 v48, v49, v46
	v_fma_f32 v4, -v4, v48, v47
	s_delay_alu instid0(VALU_DEP_1) | instskip(NEXT) | instid1(VALU_DEP_1)
	v_div_fmas_f32 v4, v4, v46, v48
	v_div_fixup_f32 v35, v4, s5, v35
.LBB2_42:                               ;   in Loop: Header=BB2_26 Depth=1
	v_cvt_f32_f16_e32 v36, v36
	s_and_not1_b32 vcc_lo, exec_lo, s25
	s_cbranch_vccnz .LBB2_44
; %bb.43:                               ;   in Loop: Header=BB2_26 Depth=1
	s_load_b32 s5, s[12:13], 0x0
	s_waitcnt lgkmcnt(0)
	v_div_scale_f32 v4, null, s5, s5, v36
	s_delay_alu instid0(VALU_DEP_1) | instskip(SKIP_2) | instid1(VALU_DEP_1)
	v_rcp_f32_e32 v46, v4
	s_waitcnt_depctr 0xfff
	v_fma_f32 v47, -v4, v46, 1.0
	v_fmac_f32_e32 v46, v47, v46
	v_div_scale_f32 v47, vcc_lo, v36, s5, v36
	s_delay_alu instid0(VALU_DEP_1) | instskip(NEXT) | instid1(VALU_DEP_1)
	v_mul_f32_e32 v48, v47, v46
	v_fma_f32 v49, -v4, v48, v47
	s_delay_alu instid0(VALU_DEP_1) | instskip(NEXT) | instid1(VALU_DEP_1)
	v_fmac_f32_e32 v48, v49, v46
	v_fma_f32 v4, -v4, v48, v47
	s_delay_alu instid0(VALU_DEP_1) | instskip(NEXT) | instid1(VALU_DEP_1)
	v_div_fmas_f32 v4, v4, v46, v48
	v_div_fixup_f32 v36, v4, s5, v36
.LBB2_44:                               ;   in Loop: Header=BB2_26 Depth=1
	v_cvt_f32_f16_e32 v38, v38
	s_and_not1_b32 vcc_lo, exec_lo, s25
	s_cbranch_vccnz .LBB2_46
; %bb.45:                               ;   in Loop: Header=BB2_26 Depth=1
	s_load_b32 s5, s[12:13], 0x0
	s_waitcnt lgkmcnt(0)
	v_div_scale_f32 v4, null, s5, s5, v38
	s_delay_alu instid0(VALU_DEP_1) | instskip(SKIP_2) | instid1(VALU_DEP_1)
	v_rcp_f32_e32 v46, v4
	s_waitcnt_depctr 0xfff
	v_fma_f32 v47, -v4, v46, 1.0
	v_fmac_f32_e32 v46, v47, v46
	v_div_scale_f32 v47, vcc_lo, v38, s5, v38
	s_delay_alu instid0(VALU_DEP_1) | instskip(NEXT) | instid1(VALU_DEP_1)
	v_mul_f32_e32 v48, v47, v46
	v_fma_f32 v49, -v4, v48, v47
	s_delay_alu instid0(VALU_DEP_1) | instskip(NEXT) | instid1(VALU_DEP_1)
	v_fmac_f32_e32 v48, v49, v46
	v_fma_f32 v4, -v4, v48, v47
	s_delay_alu instid0(VALU_DEP_1) | instskip(NEXT) | instid1(VALU_DEP_1)
	v_div_fmas_f32 v4, v4, v46, v48
	v_div_fixup_f32 v38, v4, s5, v38
.LBB2_46:                               ;   in Loop: Header=BB2_26 Depth=1
	;; [unrolled: 23-line block ×3, first 2 shown]
	v_cvt_f32_f16_e32 v3, v3
	v_cndmask_b32_e64 v48, v35, -v35, s24
	s_delay_alu instid0(VALU_DEP_2) | instskip(NEXT) | instid1(VALU_DEP_2)
	v_cvt_f64_f32_e32 v[3:4], v3
	v_cvt_f64_f32_e32 v[46:47], v48
	s_delay_alu instid0(VALU_DEP_1) | instskip(NEXT) | instid1(VALU_DEP_1)
	v_fma_f64 v[46:47], v[3:4], s[10:11], v[46:47]
	v_cvt_f32_f64_e32 v46, v[46:47]
	s_delay_alu instid0(VALU_DEP_1) | instskip(NEXT) | instid1(VALU_DEP_1)
	v_cndmask_b32_e64 v46, v48, v46, s0
	v_fma_mix_f32 v43, v46, v46, v43 op_sel_hi:[0,0,1]
	s_and_saveexec_b32 s21, s1
	s_cbranch_execz .LBB2_50
; %bb.49:                               ;   in Loop: Header=BB2_26 Depth=1
	s_delay_alu instid0(VALU_DEP_1) | instskip(SKIP_1) | instid1(VALU_DEP_2)
	v_mul_f32_e32 v47, 0x4f800000, v43
	v_cmp_gt_f32_e32 vcc_lo, 0xf800000, v43
	v_cndmask_b32_e32 v47, v43, v47, vcc_lo
	s_delay_alu instid0(VALU_DEP_1) | instskip(SKIP_3) | instid1(VALU_DEP_2)
	v_sqrt_f32_e32 v48, v47
	s_waitcnt_depctr 0xfff
	v_add_nc_u32_e32 v49, -1, v48
	v_add_nc_u32_e32 v50, 1, v48
	v_fma_f32 v51, -v49, v48, v47
	s_delay_alu instid0(VALU_DEP_2) | instskip(NEXT) | instid1(VALU_DEP_2)
	v_fma_f32 v52, -v50, v48, v47
	v_cmp_ge_f32_e64 s5, 0, v51
	s_delay_alu instid0(VALU_DEP_1) | instskip(NEXT) | instid1(VALU_DEP_3)
	v_cndmask_b32_e64 v48, v48, v49, s5
	v_cmp_lt_f32_e64 s5, 0, v52
	s_delay_alu instid0(VALU_DEP_1) | instskip(NEXT) | instid1(VALU_DEP_1)
	v_cndmask_b32_e64 v48, v48, v50, s5
	v_mul_f32_e32 v49, 0x37800000, v48
	s_delay_alu instid0(VALU_DEP_1) | instskip(SKIP_1) | instid1(VALU_DEP_2)
	v_cndmask_b32_e32 v48, v48, v49, vcc_lo
	v_cmp_class_f32_e64 vcc_lo, v47, 0x260
	v_cndmask_b32_e32 v48, v48, v47, vcc_lo
	v_cvt_f64_f32_e32 v[46:47], v46
	s_delay_alu instid0(VALU_DEP_2) | instskip(NEXT) | instid1(VALU_DEP_2)
	v_cvt_f64_f32_e32 v[48:49], v48
	v_mul_f64 v[46:47], v[1:2], v[46:47]
	s_delay_alu instid0(VALU_DEP_2) | instskip(NEXT) | instid1(VALU_DEP_1)
	v_add_f64 v[48:49], v[48:49], s[16:17]
	v_div_scale_f64 v[50:51], null, v[48:49], v[48:49], v[46:47]
	v_div_scale_f64 v[56:57], vcc_lo, v[46:47], v[48:49], v[46:47]
	s_delay_alu instid0(VALU_DEP_2) | instskip(SKIP_2) | instid1(VALU_DEP_1)
	v_rcp_f64_e32 v[52:53], v[50:51]
	s_waitcnt_depctr 0xfff
	v_fma_f64 v[54:55], -v[50:51], v[52:53], 1.0
	v_fma_f64 v[52:53], v[52:53], v[54:55], v[52:53]
	s_delay_alu instid0(VALU_DEP_1) | instskip(NEXT) | instid1(VALU_DEP_1)
	v_fma_f64 v[54:55], -v[50:51], v[52:53], 1.0
	v_fma_f64 v[52:53], v[52:53], v[54:55], v[52:53]
	s_delay_alu instid0(VALU_DEP_1) | instskip(NEXT) | instid1(VALU_DEP_1)
	v_mul_f64 v[54:55], v[56:57], v[52:53]
	v_fma_f64 v[50:51], -v[50:51], v[54:55], v[56:57]
	s_delay_alu instid0(VALU_DEP_1) | instskip(NEXT) | instid1(VALU_DEP_1)
	v_div_fmas_f64 v[50:51], v[50:51], v[52:53], v[54:55]
	v_div_fixup_f64 v[46:47], v[50:51], v[48:49], v[46:47]
	s_delay_alu instid0(VALU_DEP_1) | instskip(NEXT) | instid1(VALU_DEP_1)
	v_add_f64 v[3:4], v[3:4], -v[46:47]
	v_cvt_f32_f64_e32 v3, v[3:4]
	s_delay_alu instid0(VALU_DEP_1)
	v_cvt_f16_f32_e32 v46, v3
	v_add_co_u32 v3, vcc_lo, v5, s14
	v_add_co_ci_u32_e32 v4, vcc_lo, s15, v6, vcc_lo
	global_store_b16 v[3:4], v46, off
.LBB2_50:                               ;   in Loop: Header=BB2_26 Depth=1
	s_or_b32 exec_lo, exec_lo, s21
	v_cvt_f32_f16_e32 v3, v41
	v_cndmask_b32_e64 v41, v36, -v36, s24
	s_delay_alu instid0(VALU_DEP_2) | instskip(NEXT) | instid1(VALU_DEP_2)
	v_cvt_f64_f32_e32 v[3:4], v3
	v_cvt_f64_f32_e32 v[46:47], v41
	s_delay_alu instid0(VALU_DEP_1) | instskip(NEXT) | instid1(VALU_DEP_1)
	v_fma_f64 v[46:47], v[3:4], s[10:11], v[46:47]
	v_cvt_f32_f64_e32 v46, v[46:47]
	s_delay_alu instid0(VALU_DEP_1) | instskip(NEXT) | instid1(VALU_DEP_1)
	v_cndmask_b32_e64 v46, v41, v46, s0
	v_fma_mix_f32 v41, v46, v46, v45 op_sel_hi:[0,0,1]
	s_and_saveexec_b32 s21, s2
	s_cbranch_execz .LBB2_52
; %bb.51:                               ;   in Loop: Header=BB2_26 Depth=1
	s_delay_alu instid0(VALU_DEP_1) | instskip(SKIP_1) | instid1(VALU_DEP_2)
	v_mul_f32_e32 v45, 0x4f800000, v41
	v_cmp_gt_f32_e32 vcc_lo, 0xf800000, v41
	v_cndmask_b32_e32 v45, v41, v45, vcc_lo
	s_delay_alu instid0(VALU_DEP_1) | instskip(SKIP_3) | instid1(VALU_DEP_2)
	v_sqrt_f32_e32 v47, v45
	s_waitcnt_depctr 0xfff
	v_add_nc_u32_e32 v48, -1, v47
	v_add_nc_u32_e32 v49, 1, v47
	v_fma_f32 v50, -v48, v47, v45
	s_delay_alu instid0(VALU_DEP_2) | instskip(NEXT) | instid1(VALU_DEP_2)
	v_fma_f32 v51, -v49, v47, v45
	v_cmp_ge_f32_e64 s5, 0, v50
	s_delay_alu instid0(VALU_DEP_1) | instskip(NEXT) | instid1(VALU_DEP_3)
	v_cndmask_b32_e64 v47, v47, v48, s5
	v_cmp_lt_f32_e64 s5, 0, v51
	s_delay_alu instid0(VALU_DEP_1) | instskip(NEXT) | instid1(VALU_DEP_1)
	v_cndmask_b32_e64 v47, v47, v49, s5
	v_mul_f32_e32 v48, 0x37800000, v47
	s_delay_alu instid0(VALU_DEP_1) | instskip(SKIP_1) | instid1(VALU_DEP_2)
	v_cndmask_b32_e32 v47, v47, v48, vcc_lo
	v_cmp_class_f32_e64 vcc_lo, v45, 0x260
	v_cndmask_b32_e32 v47, v47, v45, vcc_lo
	v_cvt_f64_f32_e32 v[45:46], v46
	s_delay_alu instid0(VALU_DEP_2) | instskip(NEXT) | instid1(VALU_DEP_2)
	v_cvt_f64_f32_e32 v[47:48], v47
	v_mul_f64 v[45:46], v[1:2], v[45:46]
	s_delay_alu instid0(VALU_DEP_2) | instskip(NEXT) | instid1(VALU_DEP_1)
	v_add_f64 v[47:48], v[47:48], s[16:17]
	v_div_scale_f64 v[49:50], null, v[47:48], v[47:48], v[45:46]
	v_div_scale_f64 v[55:56], vcc_lo, v[45:46], v[47:48], v[45:46]
	s_delay_alu instid0(VALU_DEP_2) | instskip(SKIP_2) | instid1(VALU_DEP_1)
	v_rcp_f64_e32 v[51:52], v[49:50]
	s_waitcnt_depctr 0xfff
	v_fma_f64 v[53:54], -v[49:50], v[51:52], 1.0
	v_fma_f64 v[51:52], v[51:52], v[53:54], v[51:52]
	s_delay_alu instid0(VALU_DEP_1) | instskip(NEXT) | instid1(VALU_DEP_1)
	v_fma_f64 v[53:54], -v[49:50], v[51:52], 1.0
	v_fma_f64 v[51:52], v[51:52], v[53:54], v[51:52]
	s_delay_alu instid0(VALU_DEP_1) | instskip(NEXT) | instid1(VALU_DEP_1)
	v_mul_f64 v[53:54], v[55:56], v[51:52]
	v_fma_f64 v[49:50], -v[49:50], v[53:54], v[55:56]
	s_delay_alu instid0(VALU_DEP_1) | instskip(NEXT) | instid1(VALU_DEP_1)
	v_div_fmas_f64 v[49:50], v[49:50], v[51:52], v[53:54]
	v_div_fixup_f64 v[45:46], v[49:50], v[47:48], v[45:46]
	s_delay_alu instid0(VALU_DEP_1) | instskip(NEXT) | instid1(VALU_DEP_1)
	v_add_f64 v[3:4], v[3:4], -v[45:46]
	v_cvt_f32_f64_e32 v3, v[3:4]
	s_delay_alu instid0(VALU_DEP_1)
	v_cvt_f16_f32_e32 v45, v3
	v_add_co_u32 v3, vcc_lo, v29, s14
	v_add_co_ci_u32_e32 v4, vcc_lo, s15, v30, vcc_lo
	global_store_b16 v[3:4], v45, off
.LBB2_52:                               ;   in Loop: Header=BB2_26 Depth=1
	s_or_b32 exec_lo, exec_lo, s21
	v_cvt_f32_f16_e32 v3, v39
	v_cndmask_b32_e64 v39, v38, -v38, s24
	s_delay_alu instid0(VALU_DEP_2) | instskip(NEXT) | instid1(VALU_DEP_2)
	v_cvt_f64_f32_e32 v[3:4], v3
	v_cvt_f64_f32_e32 v[45:46], v39
	s_delay_alu instid0(VALU_DEP_1) | instskip(NEXT) | instid1(VALU_DEP_1)
	v_fma_f64 v[45:46], v[3:4], s[10:11], v[45:46]
	v_cvt_f32_f64_e32 v45, v[45:46]
	s_delay_alu instid0(VALU_DEP_1) | instskip(NEXT) | instid1(VALU_DEP_1)
	v_cndmask_b32_e64 v45, v39, v45, s0
	v_fma_mix_f32 v39, v45, v45, v44 op_sel_hi:[0,0,1]
	s_and_saveexec_b32 s21, s3
	s_cbranch_execz .LBB2_54
; %bb.53:                               ;   in Loop: Header=BB2_26 Depth=1
	s_delay_alu instid0(VALU_DEP_1) | instskip(SKIP_1) | instid1(VALU_DEP_2)
	v_mul_f32_e32 v44, 0x4f800000, v39
	v_cmp_gt_f32_e32 vcc_lo, 0xf800000, v39
	v_cndmask_b32_e32 v44, v39, v44, vcc_lo
	s_delay_alu instid0(VALU_DEP_1) | instskip(SKIP_3) | instid1(VALU_DEP_2)
	v_sqrt_f32_e32 v46, v44
	s_waitcnt_depctr 0xfff
	v_add_nc_u32_e32 v47, -1, v46
	v_add_nc_u32_e32 v48, 1, v46
	v_fma_f32 v49, -v47, v46, v44
	s_delay_alu instid0(VALU_DEP_2) | instskip(NEXT) | instid1(VALU_DEP_2)
	v_fma_f32 v50, -v48, v46, v44
	v_cmp_ge_f32_e64 s5, 0, v49
	s_delay_alu instid0(VALU_DEP_1) | instskip(NEXT) | instid1(VALU_DEP_3)
	v_cndmask_b32_e64 v46, v46, v47, s5
	v_cmp_lt_f32_e64 s5, 0, v50
	s_delay_alu instid0(VALU_DEP_1) | instskip(NEXT) | instid1(VALU_DEP_1)
	v_cndmask_b32_e64 v46, v46, v48, s5
	v_mul_f32_e32 v47, 0x37800000, v46
	s_delay_alu instid0(VALU_DEP_1) | instskip(SKIP_1) | instid1(VALU_DEP_2)
	v_cndmask_b32_e32 v46, v46, v47, vcc_lo
	v_cmp_class_f32_e64 vcc_lo, v44, 0x260
	v_cndmask_b32_e32 v46, v46, v44, vcc_lo
	v_cvt_f64_f32_e32 v[44:45], v45
	s_delay_alu instid0(VALU_DEP_2) | instskip(NEXT) | instid1(VALU_DEP_2)
	v_cvt_f64_f32_e32 v[46:47], v46
	v_mul_f64 v[44:45], v[1:2], v[44:45]
	s_delay_alu instid0(VALU_DEP_2) | instskip(NEXT) | instid1(VALU_DEP_1)
	v_add_f64 v[46:47], v[46:47], s[16:17]
	v_div_scale_f64 v[48:49], null, v[46:47], v[46:47], v[44:45]
	v_div_scale_f64 v[54:55], vcc_lo, v[44:45], v[46:47], v[44:45]
	s_delay_alu instid0(VALU_DEP_2) | instskip(SKIP_2) | instid1(VALU_DEP_1)
	v_rcp_f64_e32 v[50:51], v[48:49]
	s_waitcnt_depctr 0xfff
	v_fma_f64 v[52:53], -v[48:49], v[50:51], 1.0
	v_fma_f64 v[50:51], v[50:51], v[52:53], v[50:51]
	s_delay_alu instid0(VALU_DEP_1) | instskip(NEXT) | instid1(VALU_DEP_1)
	v_fma_f64 v[52:53], -v[48:49], v[50:51], 1.0
	v_fma_f64 v[50:51], v[50:51], v[52:53], v[50:51]
	s_delay_alu instid0(VALU_DEP_1) | instskip(NEXT) | instid1(VALU_DEP_1)
	v_mul_f64 v[52:53], v[54:55], v[50:51]
	v_fma_f64 v[48:49], -v[48:49], v[52:53], v[54:55]
	s_delay_alu instid0(VALU_DEP_1) | instskip(NEXT) | instid1(VALU_DEP_1)
	v_div_fmas_f64 v[48:49], v[48:49], v[50:51], v[52:53]
	v_div_fixup_f64 v[44:45], v[48:49], v[46:47], v[44:45]
	s_delay_alu instid0(VALU_DEP_1) | instskip(NEXT) | instid1(VALU_DEP_1)
	v_add_f64 v[3:4], v[3:4], -v[44:45]
	v_cvt_f32_f64_e32 v3, v[3:4]
	s_delay_alu instid0(VALU_DEP_1)
	v_cvt_f16_f32_e32 v44, v3
	v_add_co_u32 v3, vcc_lo, v19, s14
	v_add_co_ci_u32_e32 v4, vcc_lo, s15, v20, vcc_lo
	global_store_b16 v[3:4], v44, off
.LBB2_54:                               ;   in Loop: Header=BB2_26 Depth=1
	s_or_b32 exec_lo, exec_lo, s21
	v_cvt_f32_f16_e32 v3, v37
	v_cndmask_b32_e64 v37, v40, -v40, s24
	s_delay_alu instid0(VALU_DEP_2) | instskip(NEXT) | instid1(VALU_DEP_2)
	v_cvt_f64_f32_e32 v[3:4], v3
	v_cvt_f64_f32_e32 v[44:45], v37
	s_delay_alu instid0(VALU_DEP_1) | instskip(NEXT) | instid1(VALU_DEP_1)
	v_fma_f64 v[44:45], v[3:4], s[10:11], v[44:45]
	v_cvt_f32_f64_e32 v44, v[44:45]
	s_delay_alu instid0(VALU_DEP_1) | instskip(SKIP_1) | instid1(VALU_DEP_1)
	v_cndmask_b32_e64 v44, v37, v44, s0
	s_waitcnt vmcnt(0)
	v_fma_mix_f32 v37, v44, v44, v42 op_sel_hi:[0,0,1]
	s_and_saveexec_b32 s21, s4
	s_cbranch_execz .LBB2_56
; %bb.55:                               ;   in Loop: Header=BB2_26 Depth=1
	s_delay_alu instid0(VALU_DEP_1) | instskip(SKIP_1) | instid1(VALU_DEP_1)
	v_cmp_gt_f32_e32 vcc_lo, 0xf800000, v37
	v_mul_f32_e32 v42, 0x4f800000, v37
	v_cndmask_b32_e32 v42, v37, v42, vcc_lo
	s_delay_alu instid0(VALU_DEP_1) | instskip(SKIP_3) | instid1(VALU_DEP_2)
	v_sqrt_f32_e32 v45, v42
	s_waitcnt_depctr 0xfff
	v_add_nc_u32_e32 v47, 1, v45
	v_add_nc_u32_e32 v46, -1, v45
	v_fma_f32 v49, -v47, v45, v42
	s_delay_alu instid0(VALU_DEP_2) | instskip(NEXT) | instid1(VALU_DEP_1)
	v_fma_f32 v48, -v46, v45, v42
	v_cmp_ge_f32_e64 s5, 0, v48
	s_delay_alu instid0(VALU_DEP_1) | instskip(NEXT) | instid1(VALU_DEP_4)
	v_cndmask_b32_e64 v45, v45, v46, s5
	v_cmp_lt_f32_e64 s5, 0, v49
	s_delay_alu instid0(VALU_DEP_1) | instskip(NEXT) | instid1(VALU_DEP_1)
	v_cndmask_b32_e64 v45, v45, v47, s5
	v_mul_f32_e32 v46, 0x37800000, v45
	s_delay_alu instid0(VALU_DEP_1) | instskip(SKIP_1) | instid1(VALU_DEP_2)
	v_cndmask_b32_e32 v45, v45, v46, vcc_lo
	v_cmp_class_f32_e64 vcc_lo, v42, 0x260
	v_cndmask_b32_e32 v42, v45, v42, vcc_lo
	v_cvt_f64_f32_e32 v[44:45], v44
	s_delay_alu instid0(VALU_DEP_2) | instskip(NEXT) | instid1(VALU_DEP_2)
	v_cvt_f64_f32_e32 v[46:47], v42
	v_mul_f64 v[44:45], v[1:2], v[44:45]
	s_delay_alu instid0(VALU_DEP_2) | instskip(NEXT) | instid1(VALU_DEP_1)
	v_add_f64 v[46:47], v[46:47], s[16:17]
	v_div_scale_f64 v[48:49], null, v[46:47], v[46:47], v[44:45]
	v_div_scale_f64 v[54:55], vcc_lo, v[44:45], v[46:47], v[44:45]
	s_delay_alu instid0(VALU_DEP_2) | instskip(SKIP_2) | instid1(VALU_DEP_1)
	v_rcp_f64_e32 v[50:51], v[48:49]
	s_waitcnt_depctr 0xfff
	v_fma_f64 v[52:53], -v[48:49], v[50:51], 1.0
	v_fma_f64 v[50:51], v[50:51], v[52:53], v[50:51]
	s_delay_alu instid0(VALU_DEP_1) | instskip(NEXT) | instid1(VALU_DEP_1)
	v_fma_f64 v[52:53], -v[48:49], v[50:51], 1.0
	v_fma_f64 v[50:51], v[50:51], v[52:53], v[50:51]
	s_delay_alu instid0(VALU_DEP_1) | instskip(NEXT) | instid1(VALU_DEP_1)
	v_mul_f64 v[52:53], v[54:55], v[50:51]
	v_fma_f64 v[48:49], -v[48:49], v[52:53], v[54:55]
	s_delay_alu instid0(VALU_DEP_1) | instskip(NEXT) | instid1(VALU_DEP_1)
	v_div_fmas_f64 v[48:49], v[48:49], v[50:51], v[52:53]
	v_div_fixup_f64 v[44:45], v[48:49], v[46:47], v[44:45]
	s_delay_alu instid0(VALU_DEP_1) | instskip(NEXT) | instid1(VALU_DEP_1)
	v_add_f64 v[3:4], v[3:4], -v[44:45]
	v_cvt_f32_f64_e32 v3, v[3:4]
	s_delay_alu instid0(VALU_DEP_1)
	v_cvt_f16_f32_e32 v42, v3
	v_add_co_u32 v3, vcc_lo, v11, s14
	v_add_co_ci_u32_e32 v4, vcc_lo, s15, v12, vcc_lo
	global_store_b16 v[3:4], v42, off
.LBB2_56:                               ;   in Loop: Header=BB2_26 Depth=1
	s_or_b32 exec_lo, exec_lo, s21
	s_delay_alu instid0(SALU_CYCLE_1)
	s_and_not1_b32 vcc_lo, exec_lo, s25
	s_cbranch_vccnz .LBB2_63
; %bb.57:                               ;   in Loop: Header=BB2_26 Depth=1
	s_and_saveexec_b32 s5, s1
	s_cbranch_execnz .LBB2_73
; %bb.58:                               ;   in Loop: Header=BB2_26 Depth=1
	s_or_b32 exec_lo, exec_lo, s5
	s_and_saveexec_b32 s5, s2
	s_cbranch_execnz .LBB2_74
.LBB2_59:                               ;   in Loop: Header=BB2_26 Depth=1
	s_or_b32 exec_lo, exec_lo, s5
	s_and_saveexec_b32 s5, s3
	s_cbranch_execnz .LBB2_75
.LBB2_60:                               ;   in Loop: Header=BB2_26 Depth=1
	s_or_b32 exec_lo, exec_lo, s5
	s_and_saveexec_b32 s5, s4
	s_cbranch_execz .LBB2_62
.LBB2_61:                               ;   in Loop: Header=BB2_26 Depth=1
	v_add_co_u32 v3, vcc_lo, v13, s14
	v_cvt_f16_f32_e32 v35, v40
	v_add_co_ci_u32_e32 v4, vcc_lo, s15, v14, vcc_lo
	global_store_b16 v[3:4], v35, off
.LBB2_62:                               ;   in Loop: Header=BB2_26 Depth=1
	s_or_b32 exec_lo, exec_lo, s5
.LBB2_63:                               ;   in Loop: Header=BB2_26 Depth=1
	s_and_saveexec_b32 s5, s1
	s_cbranch_execnz .LBB2_69
; %bb.64:                               ;   in Loop: Header=BB2_26 Depth=1
	s_or_b32 exec_lo, exec_lo, s5
	s_and_saveexec_b32 s1, s2
	s_cbranch_execnz .LBB2_70
.LBB2_65:                               ;   in Loop: Header=BB2_26 Depth=1
	s_or_b32 exec_lo, exec_lo, s1
	s_and_saveexec_b32 s1, s3
	s_cbranch_execnz .LBB2_71
.LBB2_66:                               ;   in Loop: Header=BB2_26 Depth=1
	s_or_b32 exec_lo, exec_lo, s1
	s_and_saveexec_b32 s1, s4
	s_cbranch_execz .LBB2_25
	s_branch .LBB2_72
.LBB2_67:                               ;   in Loop: Header=BB2_26 Depth=1
	v_add_co_u32 v46, vcc_lo, v11, s14
	v_add_co_ci_u32_e32 v47, vcc_lo, s15, v12, vcc_lo
	v_add_co_u32 v48, vcc_lo, v13, s14
	v_add_co_ci_u32_e32 v49, vcc_lo, s15, v14, vcc_lo
	global_load_u16 v37, v[46:47], off
	global_load_u16 v40, v[48:49], off
	s_or_b32 exec_lo, exec_lo, s5
	v_mov_b32_e32 v42, 0
	s_and_saveexec_b32 s5, s4
	s_cbranch_execz .LBB2_40
.LBB2_68:                               ;   in Loop: Header=BB2_26 Depth=1
	v_add_co_u32 v46, vcc_lo, v15, s14
	v_add_co_ci_u32_e32 v47, vcc_lo, s15, v16, vcc_lo
	global_load_u16 v42, v[46:47], off
	s_or_b32 exec_lo, exec_lo, s5
	s_waitcnt vmcnt(1)
	v_cvt_f32_f16_e32 v35, v4
	s_and_not1_b32 vcc_lo, exec_lo, s25
	s_cbranch_vccz .LBB2_41
	s_branch .LBB2_42
.LBB2_69:                               ;   in Loop: Header=BB2_26 Depth=1
	v_add_co_u32 v3, vcc_lo, v9, s14
	v_cvt_f16_f32_e32 v35, v43
	v_add_co_ci_u32_e32 v4, vcc_lo, s15, v10, vcc_lo
	global_store_b16 v[3:4], v35, off
	s_or_b32 exec_lo, exec_lo, s5
	s_and_saveexec_b32 s1, s2
	s_cbranch_execz .LBB2_65
.LBB2_70:                               ;   in Loop: Header=BB2_26 Depth=1
	v_add_co_u32 v3, vcc_lo, v33, s14
	v_cvt_f16_f32_e32 v35, v41
	v_add_co_ci_u32_e32 v4, vcc_lo, s15, v34, vcc_lo
	global_store_b16 v[3:4], v35, off
	s_or_b32 exec_lo, exec_lo, s1
	s_and_saveexec_b32 s1, s3
	s_cbranch_execz .LBB2_66
.LBB2_71:                               ;   in Loop: Header=BB2_26 Depth=1
	v_add_co_u32 v3, vcc_lo, v24, s14
	v_cvt_f16_f32_e32 v35, v39
	v_add_co_ci_u32_e32 v4, vcc_lo, s15, v25, vcc_lo
	global_store_b16 v[3:4], v35, off
	s_or_b32 exec_lo, exec_lo, s1
	s_and_saveexec_b32 s1, s4
	s_cbranch_execz .LBB2_25
.LBB2_72:                               ;   in Loop: Header=BB2_26 Depth=1
	v_add_co_u32 v3, vcc_lo, v15, s14
	v_cvt_f16_f32_e32 v35, v37
	v_add_co_ci_u32_e32 v4, vcc_lo, s15, v16, vcc_lo
	global_store_b16 v[3:4], v35, off
	s_branch .LBB2_25
.LBB2_73:                               ;   in Loop: Header=BB2_26 Depth=1
	v_add_co_u32 v3, vcc_lo, v7, s14
	v_cvt_f16_f32_e32 v35, v35
	v_add_co_ci_u32_e32 v4, vcc_lo, s15, v8, vcc_lo
	global_store_b16 v[3:4], v35, off
	s_or_b32 exec_lo, exec_lo, s5
	s_and_saveexec_b32 s5, s2
	s_cbranch_execz .LBB2_59
.LBB2_74:                               ;   in Loop: Header=BB2_26 Depth=1
	v_add_co_u32 v3, vcc_lo, v31, s14
	v_cvt_f16_f32_e32 v35, v36
	v_add_co_ci_u32_e32 v4, vcc_lo, s15, v32, vcc_lo
	global_store_b16 v[3:4], v35, off
	s_or_b32 exec_lo, exec_lo, s5
	s_and_saveexec_b32 s5, s3
	s_cbranch_execz .LBB2_60
.LBB2_75:                               ;   in Loop: Header=BB2_26 Depth=1
	v_add_co_u32 v3, vcc_lo, v21, s14
	v_cvt_f16_f32_e32 v35, v38
	v_add_co_ci_u32_e32 v4, vcc_lo, s15, v22, vcc_lo
	global_store_b16 v[3:4], v35, off
	s_or_b32 exec_lo, exec_lo, s5
	s_and_saveexec_b32 s5, s4
	s_cbranch_execnz .LBB2_61
	s_branch .LBB2_62
.LBB2_76:
	s_nop 0
	s_sendmsg sendmsg(MSG_DEALLOC_VGPRS)
	s_endpgm
	.section	.rodata,"a",@progbits
	.p2align	6, 0x0
	.amdhsa_kernel _ZN2at6native12_GLOBAL__N_125multi_tensor_apply_kernelINS1_32FusedOptimizerTensorListMetadataILi3EEENS1_23FusedAdagradMathFunctorIN3c104HalfEEEJPKfddddbSA_SA_EEEvT_T0_DpT1_
		.amdhsa_group_segment_fixed_size 0
		.amdhsa_private_segment_fixed_size 0
		.amdhsa_kernarg_size 3856
		.amdhsa_user_sgpr_count 15
		.amdhsa_user_sgpr_dispatch_ptr 0
		.amdhsa_user_sgpr_queue_ptr 0
		.amdhsa_user_sgpr_kernarg_segment_ptr 1
		.amdhsa_user_sgpr_dispatch_id 0
		.amdhsa_user_sgpr_private_segment_size 0
		.amdhsa_wavefront_size32 1
		.amdhsa_uses_dynamic_stack 0
		.amdhsa_enable_private_segment 0
		.amdhsa_system_sgpr_workgroup_id_x 1
		.amdhsa_system_sgpr_workgroup_id_y 0
		.amdhsa_system_sgpr_workgroup_id_z 0
		.amdhsa_system_sgpr_workgroup_info 0
		.amdhsa_system_vgpr_workitem_id 0
		.amdhsa_next_free_vgpr 77
		.amdhsa_next_free_sgpr 36
		.amdhsa_reserve_vcc 1
		.amdhsa_float_round_mode_32 0
		.amdhsa_float_round_mode_16_64 0
		.amdhsa_float_denorm_mode_32 3
		.amdhsa_float_denorm_mode_16_64 3
		.amdhsa_dx10_clamp 1
		.amdhsa_ieee_mode 1
		.amdhsa_fp16_overflow 0
		.amdhsa_workgroup_processor_mode 1
		.amdhsa_memory_ordered 1
		.amdhsa_forward_progress 0
		.amdhsa_shared_vgpr_count 0
		.amdhsa_exception_fp_ieee_invalid_op 0
		.amdhsa_exception_fp_denorm_src 0
		.amdhsa_exception_fp_ieee_div_zero 0
		.amdhsa_exception_fp_ieee_overflow 0
		.amdhsa_exception_fp_ieee_underflow 0
		.amdhsa_exception_fp_ieee_inexact 0
		.amdhsa_exception_int_div_zero 0
	.end_amdhsa_kernel
	.section	.text._ZN2at6native12_GLOBAL__N_125multi_tensor_apply_kernelINS1_32FusedOptimizerTensorListMetadataILi3EEENS1_23FusedAdagradMathFunctorIN3c104HalfEEEJPKfddddbSA_SA_EEEvT_T0_DpT1_,"axG",@progbits,_ZN2at6native12_GLOBAL__N_125multi_tensor_apply_kernelINS1_32FusedOptimizerTensorListMetadataILi3EEENS1_23FusedAdagradMathFunctorIN3c104HalfEEEJPKfddddbSA_SA_EEEvT_T0_DpT1_,comdat
.Lfunc_end2:
	.size	_ZN2at6native12_GLOBAL__N_125multi_tensor_apply_kernelINS1_32FusedOptimizerTensorListMetadataILi3EEENS1_23FusedAdagradMathFunctorIN3c104HalfEEEJPKfddddbSA_SA_EEEvT_T0_DpT1_, .Lfunc_end2-_ZN2at6native12_GLOBAL__N_125multi_tensor_apply_kernelINS1_32FusedOptimizerTensorListMetadataILi3EEENS1_23FusedAdagradMathFunctorIN3c104HalfEEEJPKfddddbSA_SA_EEEvT_T0_DpT1_
                                        ; -- End function
	.section	.AMDGPU.csdata,"",@progbits
; Kernel info:
; codeLenInByte = 6292
; NumSgprs: 38
; NumVgprs: 77
; ScratchSize: 0
; MemoryBound: 0
; FloatMode: 240
; IeeeMode: 1
; LDSByteSize: 0 bytes/workgroup (compile time only)
; SGPRBlocks: 4
; VGPRBlocks: 9
; NumSGPRsForWavesPerEU: 38
; NumVGPRsForWavesPerEU: 77
; Occupancy: 16
; WaveLimiterHint : 0
; COMPUTE_PGM_RSRC2:SCRATCH_EN: 0
; COMPUTE_PGM_RSRC2:USER_SGPR: 15
; COMPUTE_PGM_RSRC2:TRAP_HANDLER: 0
; COMPUTE_PGM_RSRC2:TGID_X_EN: 1
; COMPUTE_PGM_RSRC2:TGID_Y_EN: 0
; COMPUTE_PGM_RSRC2:TGID_Z_EN: 0
; COMPUTE_PGM_RSRC2:TIDIG_COMP_CNT: 0
	.section	.text._ZN2at6native12_GLOBAL__N_125multi_tensor_apply_kernelINS1_32FusedOptimizerTensorListMetadataILi3EEENS1_23FusedAdagradMathFunctorIN3c108BFloat16EEEJPKfddddbSA_SA_EEEvT_T0_DpT1_,"axG",@progbits,_ZN2at6native12_GLOBAL__N_125multi_tensor_apply_kernelINS1_32FusedOptimizerTensorListMetadataILi3EEENS1_23FusedAdagradMathFunctorIN3c108BFloat16EEEJPKfddddbSA_SA_EEEvT_T0_DpT1_,comdat
	.globl	_ZN2at6native12_GLOBAL__N_125multi_tensor_apply_kernelINS1_32FusedOptimizerTensorListMetadataILi3EEENS1_23FusedAdagradMathFunctorIN3c108BFloat16EEEJPKfddddbSA_SA_EEEvT_T0_DpT1_ ; -- Begin function _ZN2at6native12_GLOBAL__N_125multi_tensor_apply_kernelINS1_32FusedOptimizerTensorListMetadataILi3EEENS1_23FusedAdagradMathFunctorIN3c108BFloat16EEEJPKfddddbSA_SA_EEEvT_T0_DpT1_
	.p2align	8
	.type	_ZN2at6native12_GLOBAL__N_125multi_tensor_apply_kernelINS1_32FusedOptimizerTensorListMetadataILi3EEENS1_23FusedAdagradMathFunctorIN3c108BFloat16EEEJPKfddddbSA_SA_EEEvT_T0_DpT1_,@function
_ZN2at6native12_GLOBAL__N_125multi_tensor_apply_kernelINS1_32FusedOptimizerTensorListMetadataILi3EEENS1_23FusedAdagradMathFunctorIN3c108BFloat16EEEJPKfddddbSA_SA_EEEvT_T0_DpT1_: ; @_ZN2at6native12_GLOBAL__N_125multi_tensor_apply_kernelINS1_32FusedOptimizerTensorListMetadataILi3EEENS1_23FusedAdagradMathFunctorIN3c108BFloat16EEEJPKfddddbSA_SA_EEEvT_T0_DpT1_
; %bb.0:
	s_load_b256 s[4:11], s[0:1], 0xdd0
	v_mov_b32_e32 v1, s15
	s_add_u32 s2, s0, s15
	s_mul_hi_u32 s3, s15, 3
	s_mul_i32 s15, s15, 3
	s_addc_u32 s12, s1, 0
	global_load_u8 v1, v1, s[0:1] offset:1920
	s_add_u32 s2, s2, s15
	s_addc_u32 s3, s12, s3
	s_waitcnt lgkmcnt(0)
	s_cmp_eq_u64 s[4:5], 0
	s_waitcnt vmcnt(0)
	v_readfirstlane_b32 s16, v1
	v_dual_mov_b32 v1, s6 :: v_dual_mov_b32 v2, s7
	s_cbranch_scc1 .LBB3_2
; %bb.1:
	s_load_b32 s4, s[4:5], 0x0
	s_waitcnt lgkmcnt(0)
	v_cvt_f64_f32_e32 v[1:2], s4
.LBB3_2:
	s_load_b128 s[12:15], s[0:1], 0xe00
	s_waitcnt lgkmcnt(0)
	s_cmp_eq_u64 s[14:15], 0
	s_cselect_b32 s4, -1, 0
	s_delay_alu instid0(SALU_CYCLE_1)
	s_and_b32 vcc_lo, exec_lo, s4
	s_cbranch_vccnz .LBB3_4
; %bb.3:
	s_load_b32 s4, s[14:15], 0x0
	s_waitcnt lgkmcnt(0)
	v_cmp_neq_f32_e64 s4, s4, 1.0
.LBB3_4:
	s_delay_alu instid0(VALU_DEP_1)
	s_and_not1_b32 vcc_lo, exec_lo, s4
	s_cbranch_vccnz .LBB3_91
; %bb.5:
	s_load_b32 s4, s[0:1], 0xdf8
	s_waitcnt lgkmcnt(0)
	s_bitcmp1_b32 s4, 0
	s_cselect_b32 s24, -1, 0
	s_and_b32 s4, s16, 0xff
	s_load_b64 s[16:17], s[0:1], 0xdf0
	s_lshl_b32 s6, s4, 3
	s_load_b64 s[4:5], s[0:1], s6 offset:0x600
	s_waitcnt lgkmcnt(0)
	s_load_b32 s4, s[4:5], 0x0
	s_waitcnt lgkmcnt(0)
	v_add_f32_e64 v3, s4, -1.0
	s_clause 0x4
	s_load_b32 s2, s[2:3], 0x8c0
	s_load_b64 s[4:5], s[0:1], s6 offset:0x480
	s_load_b64 s[20:21], s[0:1], s6 offset:0x180
	;; [unrolled: 1-line block ×4, first 2 shown]
	v_cvt_f64_f32_e32 v[3:4], v3
	s_waitcnt lgkmcnt(0)
	s_ashr_i32 s3, s2, 31
	s_delay_alu instid0(SALU_CYCLE_1) | instskip(NEXT) | instid1(VALU_DEP_1)
	s_lshl_b64 s[6:7], s[2:3], 16
	v_fma_f64 v[3:4], v[3:4], s[8:9], 1.0
	s_sub_u32 s8, s4, s6
	s_subb_u32 s9, s5, s7
	s_lshl_b64 s[14:15], s[2:3], 17
	s_and_b32 s5, s22, 7
	s_add_u32 s2, s20, s14
	s_mov_b32 s3, 0
	s_or_b32 s2, s18, s2
	s_delay_alu instid0(SALU_CYCLE_1) | instskip(NEXT) | instid1(SALU_CYCLE_1)
	s_and_b32 s2, s2, 7
	s_cmp_lg_u32 s2, 0
	s_cselect_b32 s6, -1, 0
	s_and_b32 s2, s4, 3
	s_delay_alu instid0(SALU_CYCLE_1) | instskip(NEXT) | instid1(SALU_CYCLE_1)
	s_or_b32 s2, s5, s2
	s_cmp_lg_u64 s[2:3], 0
	s_cselect_b32 s2, -1, 0
	s_delay_alu instid0(SALU_CYCLE_1) | instskip(NEXT) | instid1(VALU_DEP_1)
	s_or_b32 s2, s6, s2
	v_div_scale_f64 v[5:6], null, v[3:4], v[3:4], v[1:2]
	s_delay_alu instid0(VALU_DEP_1) | instskip(SKIP_2) | instid1(VALU_DEP_1)
	v_rcp_f64_e32 v[7:8], v[5:6]
	s_waitcnt_depctr 0xfff
	v_fma_f64 v[9:10], -v[5:6], v[7:8], 1.0
	v_fma_f64 v[7:8], v[7:8], v[9:10], v[7:8]
	s_delay_alu instid0(VALU_DEP_1) | instskip(NEXT) | instid1(VALU_DEP_1)
	v_fma_f64 v[9:10], -v[5:6], v[7:8], 1.0
	v_fma_f64 v[7:8], v[7:8], v[9:10], v[7:8]
	v_div_scale_f64 v[9:10], vcc_lo, v[1:2], v[3:4], v[1:2]
	s_delay_alu instid0(VALU_DEP_1) | instskip(NEXT) | instid1(VALU_DEP_1)
	v_mul_f64 v[11:12], v[9:10], v[7:8]
	v_fma_f64 v[5:6], -v[5:6], v[11:12], v[9:10]
	s_delay_alu instid0(VALU_DEP_1) | instskip(SKIP_2) | instid1(VALU_DEP_1)
	v_div_fmas_f64 v[5:6], v[5:6], v[7:8], v[11:12]
	s_and_not1_b32 vcc_lo, exec_lo, s2
	s_mov_b32 s2, -1
	v_div_fixup_f64 v[1:2], v[5:6], v[3:4], v[1:2]
	s_cbranch_vccz .LBB3_28
; %bb.6:
	v_dual_mov_b32 v4, 0 :: v_dual_lshlrev_b32 v3, 2, v0
	s_mov_b32 s7, exec_lo
	s_delay_alu instid0(VALU_DEP_1)
	v_cmpx_gt_i64_e64 s[8:9], v[3:4]
	s_cbranch_execz .LBB3_27
; %bb.7:
	v_cmp_neq_f64_e64 s2, s[10:11], 0
	s_load_b32 s3, s[0:1], 0xe1c
	s_cmp_lg_u64 s[12:13], 0
	v_lshlrev_b32_e32 v5, 3, v0
	s_cselect_b32 s25, -1, 0
	s_mov_b32 s26, 0
	s_delay_alu instid0(VALU_DEP_1) | instskip(NEXT) | instid1(VALU_DEP_1)
	v_add_co_u32 v19, s4, s14, v5
	v_add_co_ci_u32_e64 v20, null, s15, 0, s4
	s_waitcnt lgkmcnt(0)
	s_and_b32 s3, s3, 0xffff
	s_delay_alu instid0(SALU_CYCLE_1) | instskip(SKIP_3) | instid1(VALU_DEP_2)
	v_add_lshl_u32 v3, v0, s3, 2
	v_mov_b32_e32 v6, v4
	s_lshl_b32 s27, s3, 3
	s_lshl_b32 s28, s3, 2
	v_mov_b32_e32 v5, v3
	s_branch .LBB3_9
.LBB3_8:                                ;   in Loop: Header=BB3_9 Depth=1
	v_bfe_u32 v9, v18, 16, 1
	v_bfe_u32 v10, v17, 16, 1
	;; [unrolled: 1-line block ×3, first 2 shown]
	v_cmp_o_f32_e32 vcc_lo, v18, v18
	v_bfe_u32 v12, v3, 16, 1
	v_add3_u32 v9, v18, v9, 0x7fff
	v_add3_u32 v10, v17, v10, 0x7fff
	;; [unrolled: 1-line block ×3, first 2 shown]
	v_cmp_lt_u64_e64 s3, 0xffff, v[5:6]
	v_add3_u32 v12, v3, v12, 0x7fff
	v_lshrrev_b32_e32 v9, 16, v9
	v_and_b32_e32 v10, 0xffff0000, v10
	v_lshrrev_b32_e32 v11, 16, v11
	v_cmp_o_f32_e64 s4, v3, v3
	v_and_b32_e32 v12, 0xffff0000, v12
	v_cndmask_b32_e32 v9, 0x7fc0, v9, vcc_lo
	v_cmp_o_f32_e32 vcc_lo, v17, v17
	s_delay_alu instid0(VALU_DEP_3) | instskip(SKIP_2) | instid1(VALU_DEP_2)
	v_cndmask_b32_e64 v3, 0x7fc00000, v12, s4
	v_cndmask_b32_e32 v10, 0x7fc00000, v10, vcc_lo
	v_cmp_o_f32_e32 vcc_lo, v15, v15
	v_or_b32_e32 v9, v10, v9
	v_cndmask_b32_e32 v11, 0x7fc0, v11, vcc_lo
	v_cmp_le_i64_e32 vcc_lo, s[8:9], v[5:6]
	s_delay_alu instid0(VALU_DEP_3) | instskip(NEXT) | instid1(VALU_DEP_3)
	v_or3_b32 v9, v9, 0, 0
	v_or3_b32 v10, 0, v11, v3
	s_or_b32 s3, vcc_lo, s3
	v_add_co_u32 v19, vcc_lo, v19, s27
	v_add_co_ci_u32_e32 v20, vcc_lo, 0, v20, vcc_lo
	v_add_co_u32 v5, vcc_lo, v5, s28
	v_add_co_ci_u32_e32 v6, vcc_lo, 0, v6, vcc_lo
	s_and_b32 s3, exec_lo, s3
	global_store_b64 v[7:8], v[9:10], off
	s_or_b32 s26, s3, s26
	s_delay_alu instid0(SALU_CYCLE_1)
	s_and_not1_b32 exec_lo, exec_lo, s26
	s_cbranch_execz .LBB3_27
.LBB3_9:                                ; =>This Inner Loop Header: Depth=1
	v_add_co_u32 v9, vcc_lo, s20, v19
	v_add_co_ci_u32_e32 v10, vcc_lo, s21, v20, vcc_lo
	v_add_co_u32 v11, vcc_lo, s22, v19
	v_add_co_ci_u32_e32 v12, vcc_lo, s23, v20, vcc_lo
	v_add_co_u32 v7, vcc_lo, s18, v19
	global_load_b64 v[13:14], v[9:10], off
	v_add_co_ci_u32_e32 v8, vcc_lo, s19, v20, vcc_lo
	global_load_b64 v[17:18], v[11:12], off
	global_load_b64 v[15:16], v[7:8], off
	s_and_not1_b32 vcc_lo, exec_lo, s25
	s_waitcnt vmcnt(2)
	v_lshlrev_b32_e32 v21, 16, v13
	s_cbranch_vccnz .LBB3_11
; %bb.10:                               ;   in Loop: Header=BB3_9 Depth=1
	global_load_b32 v3, v4, s[12:13]
	s_waitcnt vmcnt(0)
	v_div_scale_f32 v22, null, v3, v3, v21
	s_delay_alu instid0(VALU_DEP_1) | instskip(SKIP_2) | instid1(VALU_DEP_1)
	v_rcp_f32_e32 v23, v22
	s_waitcnt_depctr 0xfff
	v_fma_f32 v24, -v22, v23, 1.0
	v_fmac_f32_e32 v23, v24, v23
	v_div_scale_f32 v24, vcc_lo, v21, v3, v21
	s_delay_alu instid0(VALU_DEP_1) | instskip(NEXT) | instid1(VALU_DEP_1)
	v_mul_f32_e32 v25, v24, v23
	v_fma_f32 v26, -v22, v25, v24
	s_delay_alu instid0(VALU_DEP_1) | instskip(NEXT) | instid1(VALU_DEP_1)
	v_fmac_f32_e32 v25, v26, v23
	v_fma_f32 v22, -v22, v25, v24
	s_delay_alu instid0(VALU_DEP_1) | instskip(NEXT) | instid1(VALU_DEP_1)
	v_div_fmas_f32 v22, v22, v23, v25
	v_div_fixup_f32 v21, v22, v3, v21
.LBB3_11:                               ;   in Loop: Header=BB3_9 Depth=1
	s_and_not1_b32 vcc_lo, exec_lo, s25
	s_cbranch_vccnz .LBB3_13
; %bb.12:                               ;   in Loop: Header=BB3_9 Depth=1
	s_delay_alu instid0(VALU_DEP_1) | instskip(SKIP_2) | instid1(VALU_DEP_3)
	v_bfe_u32 v3, v21, 16, 1
	v_cmp_o_f32_e32 vcc_lo, v21, v21
	v_and_b32_e32 v13, 0xffff0000, v13
	v_add3_u32 v3, v21, v3, 0x7fff
	s_delay_alu instid0(VALU_DEP_1) | instskip(NEXT) | instid1(VALU_DEP_1)
	v_lshrrev_b32_e32 v3, 16, v3
	v_cndmask_b32_e32 v3, 0x7fc0, v3, vcc_lo
	s_delay_alu instid0(VALU_DEP_1)
	v_or_b32_e32 v13, v3, v13
.LBB3_13:                               ;   in Loop: Header=BB3_9 Depth=1
	s_delay_alu instid0(VALU_DEP_1)
	v_and_b32_e32 v23, 0xffff0000, v13
	s_and_not1_b32 vcc_lo, exec_lo, s25
	s_cbranch_vccnz .LBB3_15
; %bb.14:                               ;   in Loop: Header=BB3_9 Depth=1
	global_load_b32 v3, v4, s[12:13]
	s_waitcnt vmcnt(0)
	v_div_scale_f32 v22, null, v3, v3, v23
	s_delay_alu instid0(VALU_DEP_1) | instskip(SKIP_2) | instid1(VALU_DEP_1)
	v_rcp_f32_e32 v24, v22
	s_waitcnt_depctr 0xfff
	v_fma_f32 v25, -v22, v24, 1.0
	v_fmac_f32_e32 v24, v25, v24
	v_div_scale_f32 v25, vcc_lo, v23, v3, v23
	s_delay_alu instid0(VALU_DEP_1) | instskip(NEXT) | instid1(VALU_DEP_1)
	v_mul_f32_e32 v26, v25, v24
	v_fma_f32 v27, -v22, v26, v25
	s_delay_alu instid0(VALU_DEP_1) | instskip(NEXT) | instid1(VALU_DEP_1)
	v_fmac_f32_e32 v26, v27, v24
	v_fma_f32 v22, -v22, v26, v25
	s_delay_alu instid0(VALU_DEP_1) | instskip(NEXT) | instid1(VALU_DEP_1)
	v_div_fmas_f32 v22, v22, v24, v26
	v_div_fixup_f32 v23, v22, v3, v23
.LBB3_15:                               ;   in Loop: Header=BB3_9 Depth=1
	s_and_not1_b32 vcc_lo, exec_lo, s25
	s_cbranch_vccnz .LBB3_17
; %bb.16:                               ;   in Loop: Header=BB3_9 Depth=1
	s_delay_alu instid0(VALU_DEP_1) | instskip(SKIP_2) | instid1(VALU_DEP_3)
	v_bfe_u32 v3, v23, 16, 1
	v_cmp_o_f32_e32 vcc_lo, v23, v23
	v_and_b32_e32 v13, 0xffff, v13
	v_add3_u32 v3, v23, v3, 0x7fff
	s_delay_alu instid0(VALU_DEP_1) | instskip(NEXT) | instid1(VALU_DEP_1)
	v_and_b32_e32 v3, 0xffff0000, v3
	v_cndmask_b32_e32 v3, 0x7fc00000, v3, vcc_lo
	s_delay_alu instid0(VALU_DEP_1)
	v_or_b32_e32 v13, v3, v13
.LBB3_17:                               ;   in Loop: Header=BB3_9 Depth=1
	s_delay_alu instid0(VALU_DEP_1) | instskip(SKIP_1) | instid1(VALU_DEP_1)
	v_alignbit_b32 v3, v14, v13, 16
	s_and_not1_b32 vcc_lo, exec_lo, s25
	v_and_b32_e32 v3, 0xffff0000, v3
	s_cbranch_vccnz .LBB3_19
; %bb.18:                               ;   in Loop: Header=BB3_9 Depth=1
	global_load_b32 v22, v4, s[12:13]
	s_waitcnt vmcnt(0)
	v_div_scale_f32 v24, null, v22, v22, v3
	s_delay_alu instid0(VALU_DEP_1) | instskip(SKIP_2) | instid1(VALU_DEP_1)
	v_rcp_f32_e32 v25, v24
	s_waitcnt_depctr 0xfff
	v_fma_f32 v26, -v24, v25, 1.0
	v_fmac_f32_e32 v25, v26, v25
	v_div_scale_f32 v26, vcc_lo, v3, v22, v3
	s_delay_alu instid0(VALU_DEP_1) | instskip(NEXT) | instid1(VALU_DEP_1)
	v_mul_f32_e32 v27, v26, v25
	v_fma_f32 v28, -v24, v27, v26
	s_delay_alu instid0(VALU_DEP_1) | instskip(NEXT) | instid1(VALU_DEP_1)
	v_fmac_f32_e32 v27, v28, v25
	v_fma_f32 v24, -v24, v27, v26
	s_delay_alu instid0(VALU_DEP_1) | instskip(NEXT) | instid1(VALU_DEP_1)
	v_div_fmas_f32 v24, v24, v25, v27
	v_div_fixup_f32 v3, v24, v22, v3
.LBB3_19:                               ;   in Loop: Header=BB3_9 Depth=1
	s_and_not1_b32 vcc_lo, exec_lo, s25
	s_cbranch_vccnz .LBB3_21
; %bb.20:                               ;   in Loop: Header=BB3_9 Depth=1
	s_delay_alu instid0(VALU_DEP_1) | instskip(SKIP_2) | instid1(VALU_DEP_3)
	v_bfe_u32 v22, v3, 16, 1
	v_cmp_o_f32_e32 vcc_lo, v3, v3
	v_and_b32_e32 v14, 0xffff0000, v14
	v_add3_u32 v22, v3, v22, 0x7fff
	s_delay_alu instid0(VALU_DEP_1) | instskip(NEXT) | instid1(VALU_DEP_1)
	v_lshrrev_b32_e32 v22, 16, v22
	v_cndmask_b32_e32 v22, 0x7fc0, v22, vcc_lo
	s_delay_alu instid0(VALU_DEP_1)
	v_or_b32_e32 v14, v22, v14
.LBB3_21:                               ;   in Loop: Header=BB3_9 Depth=1
	s_delay_alu instid0(VALU_DEP_1)
	v_and_b32_e32 v22, 0xffff0000, v14
	s_and_not1_b32 vcc_lo, exec_lo, s25
	s_cbranch_vccnz .LBB3_23
; %bb.22:                               ;   in Loop: Header=BB3_9 Depth=1
	global_load_b32 v24, v4, s[12:13]
	s_waitcnt vmcnt(0)
	v_div_scale_f32 v25, null, v24, v24, v22
	s_delay_alu instid0(VALU_DEP_1) | instskip(SKIP_2) | instid1(VALU_DEP_1)
	v_rcp_f32_e32 v26, v25
	s_waitcnt_depctr 0xfff
	v_fma_f32 v27, -v25, v26, 1.0
	v_fmac_f32_e32 v26, v27, v26
	v_div_scale_f32 v27, vcc_lo, v22, v24, v22
	s_delay_alu instid0(VALU_DEP_1) | instskip(NEXT) | instid1(VALU_DEP_1)
	v_mul_f32_e32 v28, v27, v26
	v_fma_f32 v29, -v25, v28, v27
	s_delay_alu instid0(VALU_DEP_1) | instskip(NEXT) | instid1(VALU_DEP_1)
	v_fmac_f32_e32 v28, v29, v26
	v_fma_f32 v25, -v25, v28, v27
	s_delay_alu instid0(VALU_DEP_1) | instskip(NEXT) | instid1(VALU_DEP_1)
	v_div_fmas_f32 v25, v25, v26, v28
	v_div_fixup_f32 v22, v25, v24, v22
.LBB3_23:                               ;   in Loop: Header=BB3_9 Depth=1
	s_and_not1_b32 vcc_lo, exec_lo, s25
	s_cbranch_vccnz .LBB3_25
; %bb.24:                               ;   in Loop: Header=BB3_9 Depth=1
	s_delay_alu instid0(VALU_DEP_1) | instskip(SKIP_2) | instid1(VALU_DEP_3)
	v_bfe_u32 v24, v22, 16, 1
	v_cmp_o_f32_e32 vcc_lo, v22, v22
	v_and_b32_e32 v14, 0xffff, v14
	v_add3_u32 v24, v22, v24, 0x7fff
	s_delay_alu instid0(VALU_DEP_1) | instskip(NEXT) | instid1(VALU_DEP_1)
	v_and_b32_e32 v24, 0xffff0000, v24
	v_cndmask_b32_e32 v24, 0x7fc00000, v24, vcc_lo
	s_delay_alu instid0(VALU_DEP_1)
	v_or_b32_e32 v14, v24, v14
.LBB3_25:                               ;   in Loop: Header=BB3_9 Depth=1
	v_cndmask_b32_e64 v35, v21, -v21, s24
	s_waitcnt vmcnt(1)
	v_and_b32_e32 v21, 0xffff0000, v17
	v_lshlrev_b32_e32 v24, 16, v17
	v_cndmask_b32_e64 v36, v23, -v23, s24
	v_and_b32_e32 v29, 0xffff0000, v18
	v_cndmask_b32_e64 v37, v22, -v22, s24
	v_cvt_f64_f32_e32 v[27:28], v21
	v_alignbit_b32 v21, v18, v17, 16
	v_cvt_f64_f32_e32 v[23:24], v24
	v_cvt_f64_f32_e32 v[25:26], v35
	;; [unrolled: 1-line block ×3, first 2 shown]
	v_cndmask_b32_e64 v38, v3, -v3, s24
	v_and_b32_e32 v3, 0xffff0000, v21
	v_cvt_f64_f32_e32 v[21:22], v29
	v_cvt_f64_f32_e32 v[29:30], v37
	s_delay_alu instid0(VALU_DEP_4) | instskip(NEXT) | instid1(VALU_DEP_4)
	v_cvt_f64_f32_e32 v[31:32], v38
	v_cvt_f64_f32_e32 v[33:34], v3
	v_fma_f64 v[25:26], v[23:24], s[10:11], v[25:26]
	v_fma_f64 v[17:18], v[27:28], s[10:11], v[17:18]
	;; [unrolled: 1-line block ×3, first 2 shown]
	s_delay_alu instid0(VALU_DEP_4) | instskip(NEXT) | instid1(VALU_DEP_4)
	v_fma_f64 v[31:32], v[33:34], s[10:11], v[31:32]
	v_cvt_f32_f64_e32 v3, v[25:26]
	s_delay_alu instid0(VALU_DEP_4)
	v_cvt_f32_f64_e32 v25, v[17:18]
	s_waitcnt vmcnt(0)
	v_and_b32_e32 v17, 0xffff0000, v15
	v_cvt_f32_f64_e32 v26, v[29:30]
	v_cvt_f32_f64_e32 v29, v[31:32]
	v_cndmask_b32_e64 v30, v35, v3, s2
	v_and_b32_e32 v3, 0xffff0000, v16
	s_delay_alu instid0(VALU_DEP_4) | instskip(SKIP_4) | instid1(VALU_DEP_4)
	v_cndmask_b32_e64 v41, v37, v26, s2
	v_lshlrev_b32_e32 v18, 16, v15
	v_alignbit_b32 v15, v16, v15, 16
	v_cndmask_b32_e64 v16, v36, v25, s2
	v_cndmask_b32_e64 v37, v38, v29, s2
	v_dual_fmac_f32 v3, v41, v41 :: v_dual_fmac_f32 v18, v30, v30
	s_delay_alu instid0(VALU_DEP_4) | instskip(NEXT) | instid1(VALU_DEP_4)
	v_and_b32_e32 v15, 0xffff0000, v15
	v_fmac_f32_e32 v17, v16, v16
	s_delay_alu instid0(VALU_DEP_3) | instskip(NEXT) | instid1(VALU_DEP_4)
	v_cmp_gt_f32_e64 s4, 0xf800000, v3
	v_mul_f32_e32 v25, 0x4f800000, v18
	v_cmp_gt_f32_e32 vcc_lo, 0xf800000, v18
	s_delay_alu instid0(VALU_DEP_4) | instskip(SKIP_1) | instid1(VALU_DEP_4)
	v_mul_f32_e32 v26, 0x4f800000, v17
	v_cmp_gt_f32_e64 s3, 0xf800000, v17
	v_cndmask_b32_e32 v31, v18, v25, vcc_lo
	s_delay_alu instid0(VALU_DEP_2) | instskip(NEXT) | instid1(VALU_DEP_1)
	v_cndmask_b32_e64 v32, v17, v26, s3
	v_sqrt_f32_e32 v35, v32
	s_waitcnt_depctr 0xfff
	v_dual_fmac_f32 v15, v37, v37 :: v_dual_add_nc_u32 v44, 1, v35
	s_delay_alu instid0(VALU_DEP_1) | instskip(SKIP_2) | instid1(VALU_DEP_4)
	v_mul_f32_e32 v25, 0x4f800000, v15
	v_cmp_gt_f32_e64 s5, 0xf800000, v15
	v_add_nc_u32_e32 v43, -1, v35
	v_fma_f32 v50, -v44, v35, v32
	s_delay_alu instid0(VALU_DEP_3) | instskip(SKIP_1) | instid1(VALU_DEP_4)
	v_cndmask_b32_e64 v36, v15, v25, s5
	v_cvt_f64_f32_e32 v[25:26], v30
	v_fma_f32 v49, -v43, v35, v32
	s_delay_alu instid0(VALU_DEP_3) | instskip(SKIP_2) | instid1(VALU_DEP_1)
	v_sqrt_f32_e32 v30, v36
	s_waitcnt_depctr 0xfff
	v_dual_mul_f32 v29, 0x4f800000, v3 :: v_dual_add_nc_u32 v52, 1, v30
	v_cndmask_b32_e64 v38, v3, v29, s4
	v_add_nc_u32_e32 v51, -1, v30
	s_delay_alu instid0(VALU_DEP_2) | instskip(SKIP_4) | instid1(VALU_DEP_2)
	v_sqrt_f32_e32 v39, v38
	s_waitcnt_depctr 0xfff
	v_add_nc_u32_e32 v46, 1, v39
	v_sqrt_f32_e32 v29, v31
	v_add_nc_u32_e32 v45, -1, v39
	v_fma_f32 v54, -v46, v39, v38
	s_delay_alu instid0(VALU_DEP_2) | instskip(SKIP_4) | instid1(VALU_DEP_2)
	v_fma_f32 v53, -v45, v39, v38
	v_mul_f64 v[25:26], v[1:2], v[25:26]
	s_waitcnt_depctr 0xfff
	v_add_nc_u32_e32 v40, -1, v29
	v_add_nc_u32_e32 v42, 1, v29
	v_fma_f32 v47, -v40, v29, v31
	s_delay_alu instid0(VALU_DEP_2) | instskip(NEXT) | instid1(VALU_DEP_2)
	v_fma_f32 v48, -v42, v29, v31
	v_cmp_ge_f32_e64 s6, 0, v47
	s_delay_alu instid0(VALU_DEP_1) | instskip(SKIP_2) | instid1(VALU_DEP_2)
	v_cndmask_b32_e64 v29, v29, v40, s6
	v_cmp_ge_f32_e64 s6, 0, v49
	v_fma_f32 v40, -v51, v30, v36
	v_cndmask_b32_e64 v35, v35, v43, s6
	v_cmp_ge_f32_e64 s6, 0, v53
	v_fma_f32 v43, -v52, v30, v36
	s_delay_alu instid0(VALU_DEP_2) | instskip(SKIP_1) | instid1(VALU_DEP_1)
	v_cndmask_b32_e64 v39, v39, v45, s6
	v_cmp_lt_f32_e64 s6, 0, v48
	v_cndmask_b32_e64 v42, v29, v42, s6
	v_cmp_ge_f32_e64 s6, 0, v40
	s_delay_alu instid0(VALU_DEP_2) | instskip(NEXT) | instid1(VALU_DEP_2)
	v_mul_f32_e32 v40, 0x37800000, v42
	v_cndmask_b32_e64 v29, v30, v51, s6
	v_cmp_lt_f32_e64 s6, 0, v50
	s_delay_alu instid0(VALU_DEP_1) | instskip(SKIP_1) | instid1(VALU_DEP_2)
	v_cndmask_b32_e64 v35, v35, v44, s6
	v_cmp_lt_f32_e64 s6, 0, v43
	v_mul_f32_e32 v44, 0x37800000, v35
	s_delay_alu instid0(VALU_DEP_2)
	v_cndmask_b32_e64 v43, v29, v52, s6
	v_cmp_lt_f32_e64 s6, 0, v54
	v_cvt_f64_f32_e32 v[29:30], v16
	v_cndmask_b32_e32 v16, v42, v40, vcc_lo
	v_cmp_class_f32_e64 vcc_lo, v31, 0x260
	v_cndmask_b32_e64 v35, v35, v44, s3
	v_cndmask_b32_e64 v39, v39, v46, s6
	s_delay_alu instid0(VALU_DEP_4) | instskip(SKIP_1) | instid1(VALU_DEP_3)
	v_cndmask_b32_e32 v16, v16, v31, vcc_lo
	v_cmp_class_f32_e64 vcc_lo, v32, 0x260
	v_dual_mul_f32 v42, 0x37800000, v39 :: v_dual_cndmask_b32 v35, v35, v32
	s_delay_alu instid0(VALU_DEP_1) | instskip(SKIP_4) | instid1(VALU_DEP_4)
	v_cndmask_b32_e64 v39, v39, v42, s4
	v_mul_f32_e32 v40, 0x37800000, v43
	v_cvt_f64_f32_e32 v[31:32], v16
	v_cmp_class_f32_e64 vcc_lo, v36, 0x260
	v_cvt_f64_f32_e32 v[41:42], v41
	v_cndmask_b32_e64 v40, v43, v40, s5
	s_delay_alu instid0(VALU_DEP_1)
	v_cndmask_b32_e32 v16, v40, v36, vcc_lo
	v_cvt_f64_f32_e32 v[35:36], v35
	v_cmp_class_f32_e64 vcc_lo, v38, 0x260
	v_cndmask_b32_e32 v43, v39, v38, vcc_lo
	v_cvt_f64_f32_e32 v[37:38], v37
	v_cvt_f64_f32_e32 v[39:40], v16
	s_delay_alu instid0(VALU_DEP_3)
	v_cvt_f64_f32_e32 v[43:44], v43
	v_mul_f64 v[29:30], v[1:2], v[29:30]
	v_add_f64 v[31:32], v[31:32], s[16:17]
	v_mul_f64 v[41:42], v[1:2], v[41:42]
	v_add_f64 v[35:36], v[35:36], s[16:17]
	v_mul_f64 v[37:38], v[1:2], v[37:38]
	v_add_f64 v[39:40], v[39:40], s[16:17]
	v_add_f64 v[43:44], v[43:44], s[16:17]
	v_div_scale_f64 v[45:46], null, v[31:32], v[31:32], v[25:26]
	v_div_scale_f64 v[69:70], vcc_lo, v[25:26], v[31:32], v[25:26]
	v_div_scale_f64 v[47:48], null, v[35:36], v[35:36], v[29:30]
	v_div_scale_f64 v[49:50], null, v[39:40], v[39:40], v[37:38]
	;; [unrolled: 1-line block ×3, first 2 shown]
	v_rcp_f64_e32 v[53:54], v[45:46]
	s_delay_alu instid0(VALU_DEP_3) | instskip(NEXT) | instid1(VALU_DEP_2)
	v_rcp_f64_e32 v[55:56], v[47:48]
	v_rcp_f64_e32 v[57:58], v[49:50]
	s_delay_alu instid0(VALU_DEP_1) | instskip(SKIP_1) | instid1(TRANS32_DEP_3)
	v_rcp_f64_e32 v[59:60], v[51:52]
	v_fma_f64 v[61:62], -v[45:46], v[53:54], 1.0
	v_fma_f64 v[63:64], -v[47:48], v[55:56], 1.0
	s_waitcnt_depctr 0xfff
	v_fma_f64 v[65:66], -v[49:50], v[57:58], 1.0
	v_fma_f64 v[67:68], -v[51:52], v[59:60], 1.0
	v_fma_f64 v[53:54], v[53:54], v[61:62], v[53:54]
	v_fma_f64 v[55:56], v[55:56], v[63:64], v[55:56]
	s_delay_alu instid0(VALU_DEP_4) | instskip(NEXT) | instid1(VALU_DEP_4)
	v_fma_f64 v[57:58], v[57:58], v[65:66], v[57:58]
	v_fma_f64 v[59:60], v[59:60], v[67:68], v[59:60]
	s_delay_alu instid0(VALU_DEP_4) | instskip(NEXT) | instid1(VALU_DEP_4)
	v_fma_f64 v[61:62], -v[45:46], v[53:54], 1.0
	v_fma_f64 v[63:64], -v[47:48], v[55:56], 1.0
	s_delay_alu instid0(VALU_DEP_4) | instskip(NEXT) | instid1(VALU_DEP_4)
	v_fma_f64 v[65:66], -v[49:50], v[57:58], 1.0
	v_fma_f64 v[67:68], -v[51:52], v[59:60], 1.0
	s_delay_alu instid0(VALU_DEP_4)
	v_fma_f64 v[53:54], v[53:54], v[61:62], v[53:54]
	v_div_scale_f64 v[61:62], s3, v[29:30], v[35:36], v[29:30]
	v_fma_f64 v[55:56], v[55:56], v[63:64], v[55:56]
	v_div_scale_f64 v[63:64], s4, v[37:38], v[39:40], v[37:38]
	;; [unrolled: 2-line block ×3, first 2 shown]
	v_fma_f64 v[59:60], v[59:60], v[67:68], v[59:60]
	v_mul_f64 v[67:68], v[69:70], v[53:54]
	v_mul_f64 v[71:72], v[61:62], v[55:56]
	v_mul_f64 v[73:74], v[63:64], v[57:58]
	s_delay_alu instid0(VALU_DEP_4) | instskip(NEXT) | instid1(VALU_DEP_4)
	v_mul_f64 v[75:76], v[65:66], v[59:60]
	v_fma_f64 v[45:46], -v[45:46], v[67:68], v[69:70]
	s_delay_alu instid0(VALU_DEP_4) | instskip(NEXT) | instid1(VALU_DEP_4)
	v_fma_f64 v[47:48], -v[47:48], v[71:72], v[61:62]
	v_fma_f64 v[49:50], -v[49:50], v[73:74], v[63:64]
	s_delay_alu instid0(VALU_DEP_4) | instskip(NEXT) | instid1(VALU_DEP_4)
	v_fma_f64 v[51:52], -v[51:52], v[75:76], v[65:66]
	v_div_fmas_f64 v[45:46], v[45:46], v[53:54], v[67:68]
	s_mov_b32 vcc_lo, s3
	s_delay_alu instid0(VALU_DEP_4) | instskip(SKIP_1) | instid1(VALU_DEP_4)
	v_div_fmas_f64 v[47:48], v[47:48], v[55:56], v[71:72]
	s_mov_b32 vcc_lo, s4
	v_div_fmas_f64 v[49:50], v[49:50], v[57:58], v[73:74]
	s_mov_b32 vcc_lo, s5
	s_delay_alu instid0(VALU_DEP_4) | instskip(NEXT) | instid1(VALU_DEP_4)
	v_div_fmas_f64 v[51:52], v[51:52], v[59:60], v[75:76]
	v_div_fixup_f64 v[25:26], v[45:46], v[31:32], v[25:26]
	s_delay_alu instid0(VALU_DEP_4) | instskip(NEXT) | instid1(VALU_DEP_4)
	v_div_fixup_f64 v[29:30], v[47:48], v[35:36], v[29:30]
	v_div_fixup_f64 v[31:32], v[49:50], v[39:40], v[37:38]
	s_delay_alu instid0(VALU_DEP_4) | instskip(NEXT) | instid1(VALU_DEP_4)
	v_div_fixup_f64 v[35:36], v[51:52], v[43:44], v[41:42]
	v_add_f64 v[23:24], v[23:24], -v[25:26]
	s_delay_alu instid0(VALU_DEP_4) | instskip(NEXT) | instid1(VALU_DEP_4)
	v_add_f64 v[25:26], v[27:28], -v[29:30]
	v_add_f64 v[27:28], v[33:34], -v[31:32]
	s_delay_alu instid0(VALU_DEP_4) | instskip(NEXT) | instid1(VALU_DEP_4)
	v_add_f64 v[21:22], v[21:22], -v[35:36]
	v_cvt_f32_f64_e32 v16, v[23:24]
	s_delay_alu instid0(VALU_DEP_4) | instskip(NEXT) | instid1(VALU_DEP_4)
	v_cvt_f32_f64_e32 v23, v[25:26]
	v_cvt_f32_f64_e32 v24, v[27:28]
	s_delay_alu instid0(VALU_DEP_4) | instskip(NEXT) | instid1(VALU_DEP_4)
	v_cvt_f32_f64_e32 v21, v[21:22]
	v_bfe_u32 v22, v16, 16, 1
	v_cmp_o_f32_e32 vcc_lo, v16, v16
	s_delay_alu instid0(VALU_DEP_2) | instskip(SKIP_1) | instid1(VALU_DEP_2)
	v_add3_u32 v22, v16, v22, 0x7fff
	v_bfe_u32 v25, v23, 16, 1
	v_lshrrev_b32_e32 v22, 16, v22
	s_delay_alu instid0(VALU_DEP_2) | instskip(NEXT) | instid1(VALU_DEP_2)
	v_add3_u32 v25, v23, v25, 0x7fff
	v_cndmask_b32_e32 v16, 0x7fc0, v22, vcc_lo
	v_cmp_o_f32_e32 vcc_lo, v23, v23
	v_bfe_u32 v26, v24, 16, 1
	s_delay_alu instid0(VALU_DEP_4) | instskip(SKIP_1) | instid1(VALU_DEP_3)
	v_and_b32_e32 v25, 0xffff0000, v25
	v_bfe_u32 v27, v21, 16, 1
	v_add3_u32 v26, v24, v26, 0x7fff
	s_delay_alu instid0(VALU_DEP_3) | instskip(NEXT) | instid1(VALU_DEP_3)
	v_cndmask_b32_e32 v23, 0x7fc00000, v25, vcc_lo
	v_add3_u32 v27, v21, v27, 0x7fff
	v_cmp_o_f32_e32 vcc_lo, v24, v24
	s_delay_alu instid0(VALU_DEP_4) | instskip(NEXT) | instid1(VALU_DEP_4)
	v_lshrrev_b32_e32 v22, 16, v26
	v_or_b32_e32 v16, v23, v16
	s_delay_alu instid0(VALU_DEP_4) | instskip(NEXT) | instid1(VALU_DEP_3)
	v_and_b32_e32 v26, 0xffff0000, v27
	v_cndmask_b32_e32 v22, 0x7fc0, v22, vcc_lo
	v_cmp_o_f32_e32 vcc_lo, v21, v21
	s_delay_alu instid0(VALU_DEP_3) | instskip(SKIP_1) | instid1(VALU_DEP_1)
	v_cndmask_b32_e32 v21, 0x7fc00000, v26, vcc_lo
	s_and_not1_b32 vcc_lo, exec_lo, s25
	v_or3_b32 v22, 0, v22, v21
	v_or3_b32 v21, v16, 0, 0
	global_store_b64 v[11:12], v[21:22], off
	s_cbranch_vccnz .LBB3_8
; %bb.26:                               ;   in Loop: Header=BB3_9 Depth=1
	global_store_b64 v[9:10], v[13:14], off
	s_branch .LBB3_8
.LBB3_27:
	s_or_b32 exec_lo, exec_lo, s7
	s_mov_b32 s2, 0
.LBB3_28:
	s_delay_alu instid0(SALU_CYCLE_1)
	s_and_not1_b32 vcc_lo, exec_lo, s2
	s_cbranch_vccnz .LBB3_91
; %bb.29:
	v_cmp_lt_i64_e64 s2, s[8:9], 1
	s_delay_alu instid0(VALU_DEP_1)
	s_and_b32 vcc_lo, exec_lo, s2
	s_cbranch_vccnz .LBB3_91
; %bb.30:
	s_load_b32 s1, s[0:1], 0xe1c
	v_dual_mov_b32 v4, 0 :: v_dual_lshlrev_b32 v3, 1, v0
	v_cmp_gt_u64_e64 s2, 0x10000, s[8:9]
	v_cmp_neq_f64_e64 s0, s[10:11], 0
	s_delay_alu instid0(VALU_DEP_3) | instskip(NEXT) | instid1(VALU_DEP_1)
	v_add_co_u32 v11, s3, s22, v3
	v_add_co_ci_u32_e64 v12, null, s23, 0, s3
	v_add_co_u32 v13, s3, s20, v3
	s_delay_alu instid0(VALU_DEP_1) | instskip(SKIP_1) | instid1(VALU_DEP_1)
	v_add_co_ci_u32_e64 v14, null, s21, 0, s3
	v_add_co_u32 v15, s3, s18, v3
	v_add_co_ci_u32_e64 v16, null, s19, 0, s3
	s_waitcnt lgkmcnt(0)
	s_and_b32 s1, s1, 0xffff
	s_and_b32 s2, s2, exec_lo
	v_mad_u64_u32 v[5:6], null, s1, 6, v[3:4]
	s_cselect_b32 s7, s9, 0
	s_cselect_b32 s6, s8, 0x10000
	s_lshl_b32 s2, s1, 1
	s_cmp_lg_u64 s[12:13], 0
	s_mul_i32 s3, s1, 3
	s_cselect_b32 s25, -1, 0
	s_delay_alu instid0(VALU_DEP_1)
	v_add_co_u32 v17, vcc_lo, s22, v5
	s_lshl_b32 s26, s1, 2
	v_add_co_ci_u32_e32 v18, vcc_lo, s23, v6, vcc_lo
	v_add_co_u32 v19, vcc_lo, s20, v5
	v_add_co_u32 v3, s4, s26, v3
	v_add_co_ci_u32_e32 v20, vcc_lo, s21, v6, vcc_lo
	v_add_co_u32 v21, vcc_lo, s18, v5
	v_add_co_ci_u32_e64 v5, null, 0, 0, s4
	v_add_co_ci_u32_e32 v22, vcc_lo, s19, v6, vcc_lo
	v_add_co_u32 v23, s3, s3, v0
	v_add_co_u32 v25, vcc_lo, s22, v3
	v_add_co_ci_u32_e64 v24, null, 0, 0, s3
	v_add_co_u32 v29, s3, v0, s1
	v_add_co_ci_u32_e32 v26, vcc_lo, s23, v5, vcc_lo
	v_add_co_u32 v27, vcc_lo, s20, v3
	v_add_co_ci_u32_e32 v28, vcc_lo, s21, v5, vcc_lo
	v_add_co_u32 v30, vcc_lo, s18, v3
	v_lshlrev_b32_e32 v3, 1, v29
	v_add_co_u32 v33, s2, s2, v0
	s_delay_alu instid0(VALU_DEP_1) | instskip(NEXT) | instid1(VALU_DEP_3)
	v_add_co_ci_u32_e64 v34, null, 0, 0, s2
	v_add_co_u32 v35, s2, s22, v3
	s_delay_alu instid0(VALU_DEP_1) | instskip(SKIP_1) | instid1(VALU_DEP_1)
	v_add_co_ci_u32_e64 v36, null, s23, 0, s2
	v_add_co_u32 v37, s2, s20, v3
	v_add_co_ci_u32_e64 v38, null, s21, 0, s2
	v_add_co_u32 v39, s2, s18, v3
	v_add_co_ci_u32_e32 v31, vcc_lo, s19, v5, vcc_lo
	v_add_co_ci_u32_e64 v32, null, 0, 0, s3
	v_add_co_ci_u32_e64 v40, null, s19, 0, s2
	s_mov_b32 s20, 0
	s_mov_b64 s[18:19], 0
	s_lshl_b32 s21, s1, 3
	s_branch .LBB3_32
.LBB3_31:                               ;   in Loop: Header=BB3_32 Depth=1
	s_or_b32 exec_lo, exec_lo, s1
	v_add_co_u32 v11, vcc_lo, v11, s21
	v_add_co_ci_u32_e32 v12, vcc_lo, 0, v12, vcc_lo
	v_add_co_u32 v13, vcc_lo, v13, s21
	v_add_co_ci_u32_e32 v14, vcc_lo, 0, v14, vcc_lo
	;; [unrolled: 2-line block ×9, first 2 shown]
	s_add_u32 s18, s18, s26
	v_add_co_u32 v35, vcc_lo, v35, s21
	s_addc_u32 s19, s19, 0
	v_add_co_ci_u32_e32 v36, vcc_lo, 0, v36, vcc_lo
	v_cmp_ge_i64_e64 s1, s[18:19], s[8:9]
	v_cmp_lt_u64_e64 s2, 0xffff, s[18:19]
	v_add_co_u32 v37, vcc_lo, v37, s21
	v_add_co_ci_u32_e32 v38, vcc_lo, 0, v38, vcc_lo
	v_add_co_u32 v39, vcc_lo, v39, s21
	v_add_co_ci_u32_e32 v40, vcc_lo, 0, v40, vcc_lo
	s_or_b32 s1, s1, s2
	s_delay_alu instid0(SALU_CYCLE_1)
	s_and_b32 vcc_lo, exec_lo, s1
	s_cbranch_vccnz .LBB3_91
.LBB3_32:                               ; =>This Inner Loop Header: Depth=1
	v_add_co_u32 v7, s1, v0, s18
	s_delay_alu instid0(VALU_DEP_1) | instskip(SKIP_2) | instid1(VALU_DEP_3)
	v_add_co_ci_u32_e64 v8, null, 0, s19, s1
	v_mov_b32_e32 v5, 0
	v_dual_mov_b32 v6, 0 :: v_dual_mov_b32 v3, 0
	v_cmp_gt_u64_e64 s1, s[6:7], v[7:8]
	s_delay_alu instid0(VALU_DEP_2) | instskip(NEXT) | instid1(VALU_DEP_2)
	v_dual_mov_b32 v8, v6 :: v_dual_mov_b32 v7, v5
	s_and_saveexec_b32 s2, s1
	s_cbranch_execz .LBB3_34
; %bb.33:                               ;   in Loop: Header=BB3_32 Depth=1
	v_add_co_u32 v7, vcc_lo, v11, s14
	v_add_co_ci_u32_e32 v8, vcc_lo, s15, v12, vcc_lo
	global_load_u16 v9, v[7:8], off
	v_add_co_u32 v7, vcc_lo, v13, s14
	v_add_co_ci_u32_e32 v8, vcc_lo, s15, v14, vcc_lo
	global_load_u16 v3, v[7:8], off
	s_waitcnt vmcnt(1)
	v_dual_mov_b32 v8, s20 :: v_dual_and_b32 v7, 0xffff, v9
.LBB3_34:                               ;   in Loop: Header=BB3_32 Depth=1
	s_or_b32 exec_lo, exec_lo, s2
	s_and_saveexec_b32 s2, s1
	s_cbranch_execz .LBB3_36
; %bb.35:                               ;   in Loop: Header=BB3_32 Depth=1
	v_add_co_u32 v5, vcc_lo, v15, s14
	v_add_co_ci_u32_e32 v6, vcc_lo, s15, v16, vcc_lo
	global_load_u16 v5, v[5:6], off
	s_waitcnt vmcnt(0)
	v_dual_mov_b32 v6, s20 :: v_dual_and_b32 v5, 0xffff, v5
.LBB3_36:                               ;   in Loop: Header=BB3_32 Depth=1
	s_or_b32 exec_lo, exec_lo, s2
	v_add_co_u32 v9, vcc_lo, v29, s18
	v_add_co_ci_u32_e32 v10, vcc_lo, s19, v32, vcc_lo
	v_mov_b32_e32 v41, 0
	s_delay_alu instid0(VALU_DEP_2) | instskip(NEXT) | instid1(VALU_DEP_1)
	v_cmp_gt_u64_e64 s2, s[6:7], v[9:10]
	s_and_saveexec_b32 s3, s2
	s_cbranch_execz .LBB3_38
; %bb.37:                               ;   in Loop: Header=BB3_32 Depth=1
	v_add_co_u32 v9, vcc_lo, v35, s14
	v_add_co_ci_u32_e32 v10, vcc_lo, s15, v36, vcc_lo
	global_load_u16 v42, v[9:10], off
	v_add_co_u32 v9, vcc_lo, v37, s14
	v_add_co_ci_u32_e32 v10, vcc_lo, s15, v38, vcc_lo
	global_load_u16 v41, v[9:10], off
	s_waitcnt vmcnt(1)
	v_lshl_or_b32 v7, v42, 16, v7
.LBB3_38:                               ;   in Loop: Header=BB3_32 Depth=1
	s_or_b32 exec_lo, exec_lo, s3
	s_and_saveexec_b32 s3, s2
	s_cbranch_execz .LBB3_40
; %bb.39:                               ;   in Loop: Header=BB3_32 Depth=1
	v_add_co_u32 v9, vcc_lo, v39, s14
	v_add_co_ci_u32_e32 v10, vcc_lo, s15, v40, vcc_lo
	global_load_u16 v9, v[9:10], off
	s_waitcnt vmcnt(0)
	v_lshl_or_b32 v5, v9, 16, v5
.LBB3_40:                               ;   in Loop: Header=BB3_32 Depth=1
	s_or_b32 exec_lo, exec_lo, s3
	v_add_co_u32 v9, vcc_lo, v33, s18
	v_add_co_ci_u32_e32 v10, vcc_lo, s19, v34, vcc_lo
	v_mov_b32_e32 v44, 0
	s_delay_alu instid0(VALU_DEP_2) | instskip(NEXT) | instid1(VALU_DEP_1)
	v_cmp_gt_u64_e64 s3, s[6:7], v[9:10]
	s_and_saveexec_b32 s4, s3
	s_cbranch_execz .LBB3_42
; %bb.41:                               ;   in Loop: Header=BB3_32 Depth=1
	v_add_co_u32 v9, vcc_lo, v25, s14
	v_add_co_ci_u32_e32 v10, vcc_lo, s15, v26, vcc_lo
	global_load_u16 v42, v[9:10], off
	v_add_co_u32 v9, vcc_lo, v27, s14
	v_add_co_ci_u32_e32 v10, vcc_lo, s15, v28, vcc_lo
	global_load_u16 v44, v[9:10], off
	s_waitcnt vmcnt(1)
	v_or_b32_e32 v8, v42, v8
.LBB3_42:                               ;   in Loop: Header=BB3_32 Depth=1
	s_or_b32 exec_lo, exec_lo, s4
	s_and_saveexec_b32 s4, s3
	s_cbranch_execz .LBB3_44
; %bb.43:                               ;   in Loop: Header=BB3_32 Depth=1
	v_add_co_u32 v9, vcc_lo, v30, s14
	v_add_co_ci_u32_e32 v10, vcc_lo, s15, v31, vcc_lo
	global_load_u16 v9, v[9:10], off
	s_waitcnt vmcnt(0)
	v_or_b32_e32 v6, v9, v6
.LBB3_44:                               ;   in Loop: Header=BB3_32 Depth=1
	s_or_b32 exec_lo, exec_lo, s4
	v_add_co_u32 v9, vcc_lo, v23, s18
	v_add_co_ci_u32_e32 v10, vcc_lo, s19, v24, vcc_lo
	v_mov_b32_e32 v45, 0
	s_delay_alu instid0(VALU_DEP_2) | instskip(NEXT) | instid1(VALU_DEP_1)
	v_cmp_gt_u64_e64 s4, s[6:7], v[9:10]
	s_and_saveexec_b32 s5, s4
	s_cbranch_execnz .LBB3_50
; %bb.45:                               ;   in Loop: Header=BB3_32 Depth=1
	s_or_b32 exec_lo, exec_lo, s5
	s_and_saveexec_b32 s5, s4
	s_cbranch_execnz .LBB3_51
.LBB3_46:                               ;   in Loop: Header=BB3_32 Depth=1
	s_or_b32 exec_lo, exec_lo, s5
	s_waitcnt vmcnt(0)
	v_lshlrev_b32_e32 v42, 16, v3
	s_and_not1_b32 vcc_lo, exec_lo, s25
	s_cbranch_vccnz .LBB3_48
.LBB3_47:                               ;   in Loop: Header=BB3_32 Depth=1
	s_load_b32 s5, s[12:13], 0x0
	s_waitcnt lgkmcnt(0)
	v_div_scale_f32 v9, null, s5, s5, v42
	s_delay_alu instid0(VALU_DEP_1) | instskip(SKIP_2) | instid1(VALU_DEP_1)
	v_rcp_f32_e32 v10, v9
	s_waitcnt_depctr 0xfff
	v_fma_f32 v43, -v9, v10, 1.0
	v_fmac_f32_e32 v10, v43, v10
	v_div_scale_f32 v43, vcc_lo, v42, s5, v42
	s_delay_alu instid0(VALU_DEP_1) | instskip(NEXT) | instid1(VALU_DEP_1)
	v_mul_f32_e32 v46, v43, v10
	v_fma_f32 v47, -v9, v46, v43
	s_delay_alu instid0(VALU_DEP_1) | instskip(NEXT) | instid1(VALU_DEP_1)
	v_fmac_f32_e32 v46, v47, v10
	v_fma_f32 v9, -v9, v46, v43
	s_delay_alu instid0(VALU_DEP_1) | instskip(NEXT) | instid1(VALU_DEP_1)
	v_div_fmas_f32 v9, v9, v10, v46
	v_div_fixup_f32 v42, v9, s5, v42
.LBB3_48:                               ;   in Loop: Header=BB3_32 Depth=1
	s_and_not1_b32 vcc_lo, exec_lo, s25
	s_cbranch_vccnz .LBB3_52
; %bb.49:                               ;   in Loop: Header=BB3_32 Depth=1
	s_delay_alu instid0(VALU_DEP_1) | instskip(SKIP_1) | instid1(VALU_DEP_2)
	v_bfe_u32 v3, v42, 16, 1
	v_cmp_o_f32_e32 vcc_lo, v42, v42
	v_add3_u32 v3, v42, v3, 0x7fff
	s_delay_alu instid0(VALU_DEP_1) | instskip(NEXT) | instid1(VALU_DEP_1)
	v_lshrrev_b32_e32 v3, 16, v3
	v_cndmask_b32_e32 v3, 0x7fc0, v3, vcc_lo
	s_delay_alu instid0(VALU_DEP_1)
	v_dual_mov_b32 v10, v4 :: v_dual_mov_b32 v9, v3
	s_branch .LBB3_53
.LBB3_50:                               ;   in Loop: Header=BB3_32 Depth=1
	v_add_co_u32 v9, vcc_lo, v17, s14
	v_add_co_ci_u32_e32 v10, vcc_lo, s15, v18, vcc_lo
	v_mov_b32_e32 v42, 0
	global_load_d16_hi_b16 v42, v[9:10], off
	v_add_co_u32 v9, vcc_lo, v19, s14
	v_add_co_ci_u32_e32 v10, vcc_lo, s15, v20, vcc_lo
	global_load_u16 v45, v[9:10], off
	s_waitcnt vmcnt(1)
	v_or_b32_e32 v8, v42, v8
	s_or_b32 exec_lo, exec_lo, s5
	s_and_saveexec_b32 s5, s4
	s_cbranch_execz .LBB3_46
.LBB3_51:                               ;   in Loop: Header=BB3_32 Depth=1
	v_add_co_u32 v9, vcc_lo, v21, s14
	v_add_co_ci_u32_e32 v10, vcc_lo, s15, v22, vcc_lo
	v_mov_b32_e32 v42, 0
	global_load_d16_hi_b16 v42, v[9:10], off
	s_waitcnt vmcnt(0)
	v_or_b32_e32 v6, v42, v6
	s_or_b32 exec_lo, exec_lo, s5
	v_lshlrev_b32_e32 v42, 16, v3
	s_and_not1_b32 vcc_lo, exec_lo, s25
	s_cbranch_vccz .LBB3_47
	s_branch .LBB3_48
.LBB3_52:                               ;   in Loop: Header=BB3_32 Depth=1
	v_dual_mov_b32 v10, s20 :: v_dual_and_b32 v9, 0xffff, v3
.LBB3_53:                               ;   in Loop: Header=BB3_32 Depth=1
	v_lshlrev_b32_e32 v3, 16, v41
	s_and_not1_b32 vcc_lo, exec_lo, s25
	s_delay_alu instid0(VALU_DEP_1) | instskip(NEXT) | instid1(VALU_DEP_1)
	v_or_b32_e32 v9, v9, v3
	v_and_b32_e32 v43, 0xffff0000, v9
	s_cbranch_vccnz .LBB3_55
; %bb.54:                               ;   in Loop: Header=BB3_32 Depth=1
	s_load_b32 s5, s[12:13], 0x0
	s_waitcnt lgkmcnt(0)
	s_delay_alu instid0(VALU_DEP_1) | instskip(NEXT) | instid1(VALU_DEP_1)
	v_div_scale_f32 v3, null, s5, s5, v43
	v_rcp_f32_e32 v41, v3
	s_waitcnt_depctr 0xfff
	v_fma_f32 v46, -v3, v41, 1.0
	s_delay_alu instid0(VALU_DEP_1) | instskip(SKIP_1) | instid1(VALU_DEP_1)
	v_fmac_f32_e32 v41, v46, v41
	v_div_scale_f32 v46, vcc_lo, v43, s5, v43
	v_mul_f32_e32 v47, v46, v41
	s_delay_alu instid0(VALU_DEP_1) | instskip(NEXT) | instid1(VALU_DEP_1)
	v_fma_f32 v48, -v3, v47, v46
	v_fmac_f32_e32 v47, v48, v41
	s_delay_alu instid0(VALU_DEP_1) | instskip(NEXT) | instid1(VALU_DEP_1)
	v_fma_f32 v3, -v3, v47, v46
	v_div_fmas_f32 v3, v3, v41, v47
	s_delay_alu instid0(VALU_DEP_1)
	v_div_fixup_f32 v43, v3, s5, v43
.LBB3_55:                               ;   in Loop: Header=BB3_32 Depth=1
	v_and_b32_e32 v3, 0xffff, v44
	v_lshlrev_b32_e32 v41, 16, v45
	s_and_not1_b32 vcc_lo, exec_lo, s25
	s_delay_alu instid0(VALU_DEP_1)
	v_or3_b32 v3, v41, v3, v10
	v_or3_b32 v41, 0, 0, v9
	s_cbranch_vccnz .LBB3_57
; %bb.56:                               ;   in Loop: Header=BB3_32 Depth=1
	v_bfe_u32 v9, v43, 16, 1
	v_cmp_o_f32_e32 vcc_lo, v43, v43
	s_delay_alu instid0(VALU_DEP_3) | instskip(NEXT) | instid1(VALU_DEP_3)
	v_and_b32_e32 v10, 0xffff, v41
	v_add3_u32 v9, v43, v9, 0x7fff
	s_delay_alu instid0(VALU_DEP_1) | instskip(NEXT) | instid1(VALU_DEP_1)
	v_and_b32_e32 v9, 0xffff0000, v9
	v_cndmask_b32_e32 v9, 0x7fc00000, v9, vcc_lo
	s_delay_alu instid0(VALU_DEP_1)
	v_or_b32_e32 v41, v9, v10
.LBB3_57:                               ;   in Loop: Header=BB3_32 Depth=1
	s_delay_alu instid0(VALU_DEP_1) | instskip(SKIP_1) | instid1(VALU_DEP_1)
	v_alignbit_b32 v9, v3, v41, 16
	s_and_not1_b32 vcc_lo, exec_lo, s25
	v_and_b32_e32 v45, 0xffff0000, v9
	s_cbranch_vccnz .LBB3_59
; %bb.58:                               ;   in Loop: Header=BB3_32 Depth=1
	s_load_b32 s5, s[12:13], 0x0
	s_waitcnt lgkmcnt(0)
	s_delay_alu instid0(VALU_DEP_1) | instskip(NEXT) | instid1(VALU_DEP_1)
	v_div_scale_f32 v9, null, s5, s5, v45
	v_rcp_f32_e32 v10, v9
	s_waitcnt_depctr 0xfff
	v_fma_f32 v44, -v9, v10, 1.0
	s_delay_alu instid0(VALU_DEP_1) | instskip(SKIP_1) | instid1(VALU_DEP_1)
	v_fmac_f32_e32 v10, v44, v10
	v_div_scale_f32 v44, vcc_lo, v45, s5, v45
	v_mul_f32_e32 v46, v44, v10
	s_delay_alu instid0(VALU_DEP_1) | instskip(NEXT) | instid1(VALU_DEP_1)
	v_fma_f32 v47, -v9, v46, v44
	v_fmac_f32_e32 v46, v47, v10
	s_delay_alu instid0(VALU_DEP_1) | instskip(NEXT) | instid1(VALU_DEP_1)
	v_fma_f32 v9, -v9, v46, v44
	v_div_fmas_f32 v9, v9, v10, v46
	s_delay_alu instid0(VALU_DEP_1)
	v_div_fixup_f32 v45, v9, s5, v45
.LBB3_59:                               ;   in Loop: Header=BB3_32 Depth=1
	s_and_not1_b32 vcc_lo, exec_lo, s25
	s_cbranch_vccnz .LBB3_61
; %bb.60:                               ;   in Loop: Header=BB3_32 Depth=1
	s_delay_alu instid0(VALU_DEP_1) | instskip(SKIP_2) | instid1(VALU_DEP_3)
	v_bfe_u32 v9, v45, 16, 1
	v_cmp_o_f32_e32 vcc_lo, v45, v45
	v_and_b32_e32 v3, 0xffff0000, v3
	v_add3_u32 v9, v45, v9, 0x7fff
	s_delay_alu instid0(VALU_DEP_1) | instskip(NEXT) | instid1(VALU_DEP_1)
	v_lshrrev_b32_e32 v9, 16, v9
	v_cndmask_b32_e32 v9, 0x7fc0, v9, vcc_lo
	s_delay_alu instid0(VALU_DEP_1)
	v_or_b32_e32 v3, v9, v3
.LBB3_61:                               ;   in Loop: Header=BB3_32 Depth=1
	s_delay_alu instid0(VALU_DEP_1)
	v_and_b32_e32 v44, 0xffff0000, v3
	s_and_not1_b32 vcc_lo, exec_lo, s25
	s_cbranch_vccnz .LBB3_63
; %bb.62:                               ;   in Loop: Header=BB3_32 Depth=1
	s_load_b32 s5, s[12:13], 0x0
	s_waitcnt lgkmcnt(0)
	v_div_scale_f32 v9, null, s5, s5, v44
	s_delay_alu instid0(VALU_DEP_1) | instskip(SKIP_2) | instid1(VALU_DEP_1)
	v_rcp_f32_e32 v10, v9
	s_waitcnt_depctr 0xfff
	v_fma_f32 v46, -v9, v10, 1.0
	v_fmac_f32_e32 v10, v46, v10
	v_div_scale_f32 v46, vcc_lo, v44, s5, v44
	s_delay_alu instid0(VALU_DEP_1) | instskip(NEXT) | instid1(VALU_DEP_1)
	v_mul_f32_e32 v47, v46, v10
	v_fma_f32 v48, -v9, v47, v46
	s_delay_alu instid0(VALU_DEP_1) | instskip(NEXT) | instid1(VALU_DEP_1)
	v_fmac_f32_e32 v47, v48, v10
	v_fma_f32 v9, -v9, v47, v46
	s_delay_alu instid0(VALU_DEP_1) | instskip(NEXT) | instid1(VALU_DEP_1)
	v_div_fmas_f32 v9, v9, v10, v47
	v_div_fixup_f32 v44, v9, s5, v44
.LBB3_63:                               ;   in Loop: Header=BB3_32 Depth=1
	s_and_not1_b32 vcc_lo, exec_lo, s25
	s_cbranch_vccnz .LBB3_65
; %bb.64:                               ;   in Loop: Header=BB3_32 Depth=1
	s_delay_alu instid0(VALU_DEP_1) | instskip(SKIP_2) | instid1(VALU_DEP_3)
	v_bfe_u32 v9, v44, 16, 1
	v_cmp_o_f32_e32 vcc_lo, v44, v44
	v_and_b32_e32 v3, 0xffff, v3
	v_add3_u32 v9, v44, v9, 0x7fff
	s_delay_alu instid0(VALU_DEP_1) | instskip(NEXT) | instid1(VALU_DEP_1)
	v_and_b32_e32 v9, 0xffff0000, v9
	v_cndmask_b32_e32 v9, 0x7fc00000, v9, vcc_lo
	s_delay_alu instid0(VALU_DEP_1)
	v_or_b32_e32 v3, v9, v3
.LBB3_65:                               ;   in Loop: Header=BB3_32 Depth=1
	v_cndmask_b32_e64 v48, v42, -v42, s24
	v_lshlrev_b32_e32 v42, 16, v5
	v_lshlrev_b32_e32 v9, 16, v7
	s_delay_alu instid0(VALU_DEP_3) | instskip(NEXT) | instid1(VALU_DEP_2)
	v_cvt_f64_f32_e32 v[46:47], v48
	v_cvt_f64_f32_e32 v[9:10], v9
	s_delay_alu instid0(VALU_DEP_1) | instskip(NEXT) | instid1(VALU_DEP_1)
	v_fma_f64 v[46:47], v[9:10], s[10:11], v[46:47]
	v_cvt_f32_f64_e32 v46, v[46:47]
	s_delay_alu instid0(VALU_DEP_1) | instskip(NEXT) | instid1(VALU_DEP_1)
	v_cndmask_b32_e64 v46, v48, v46, s0
	v_fmac_f32_e32 v42, v46, v46
	s_and_saveexec_b32 s22, s1
	s_cbranch_execz .LBB3_67
; %bb.66:                               ;   in Loop: Header=BB3_32 Depth=1
	s_delay_alu instid0(VALU_DEP_1) | instskip(SKIP_1) | instid1(VALU_DEP_2)
	v_mul_f32_e32 v47, 0x4f800000, v42
	v_cmp_gt_f32_e32 vcc_lo, 0xf800000, v42
	v_cndmask_b32_e32 v47, v42, v47, vcc_lo
	s_delay_alu instid0(VALU_DEP_1) | instskip(SKIP_3) | instid1(VALU_DEP_2)
	v_sqrt_f32_e32 v48, v47
	s_waitcnt_depctr 0xfff
	v_add_nc_u32_e32 v49, -1, v48
	v_add_nc_u32_e32 v50, 1, v48
	v_fma_f32 v51, -v49, v48, v47
	s_delay_alu instid0(VALU_DEP_2) | instskip(NEXT) | instid1(VALU_DEP_2)
	v_fma_f32 v52, -v50, v48, v47
	v_cmp_ge_f32_e64 s5, 0, v51
	s_delay_alu instid0(VALU_DEP_1) | instskip(NEXT) | instid1(VALU_DEP_3)
	v_cndmask_b32_e64 v48, v48, v49, s5
	v_cmp_lt_f32_e64 s5, 0, v52
	s_delay_alu instid0(VALU_DEP_1) | instskip(NEXT) | instid1(VALU_DEP_1)
	v_cndmask_b32_e64 v48, v48, v50, s5
	v_mul_f32_e32 v49, 0x37800000, v48
	s_delay_alu instid0(VALU_DEP_1) | instskip(SKIP_1) | instid1(VALU_DEP_2)
	v_cndmask_b32_e32 v48, v48, v49, vcc_lo
	v_cmp_class_f32_e64 vcc_lo, v47, 0x260
	v_cndmask_b32_e32 v48, v48, v47, vcc_lo
	v_cvt_f64_f32_e32 v[46:47], v46
	s_delay_alu instid0(VALU_DEP_2) | instskip(NEXT) | instid1(VALU_DEP_2)
	v_cvt_f64_f32_e32 v[48:49], v48
	v_mul_f64 v[46:47], v[1:2], v[46:47]
	s_delay_alu instid0(VALU_DEP_2) | instskip(NEXT) | instid1(VALU_DEP_1)
	v_add_f64 v[48:49], v[48:49], s[16:17]
	v_div_scale_f64 v[50:51], null, v[48:49], v[48:49], v[46:47]
	v_div_scale_f64 v[56:57], vcc_lo, v[46:47], v[48:49], v[46:47]
	s_delay_alu instid0(VALU_DEP_2) | instskip(SKIP_2) | instid1(VALU_DEP_1)
	v_rcp_f64_e32 v[52:53], v[50:51]
	s_waitcnt_depctr 0xfff
	v_fma_f64 v[54:55], -v[50:51], v[52:53], 1.0
	v_fma_f64 v[52:53], v[52:53], v[54:55], v[52:53]
	s_delay_alu instid0(VALU_DEP_1) | instskip(NEXT) | instid1(VALU_DEP_1)
	v_fma_f64 v[54:55], -v[50:51], v[52:53], 1.0
	v_fma_f64 v[52:53], v[52:53], v[54:55], v[52:53]
	s_delay_alu instid0(VALU_DEP_1) | instskip(NEXT) | instid1(VALU_DEP_1)
	v_mul_f64 v[54:55], v[56:57], v[52:53]
	v_fma_f64 v[50:51], -v[50:51], v[54:55], v[56:57]
	s_delay_alu instid0(VALU_DEP_1) | instskip(NEXT) | instid1(VALU_DEP_1)
	v_div_fmas_f64 v[50:51], v[50:51], v[52:53], v[54:55]
	v_div_fixup_f64 v[46:47], v[50:51], v[48:49], v[46:47]
	s_delay_alu instid0(VALU_DEP_1) | instskip(NEXT) | instid1(VALU_DEP_1)
	v_add_f64 v[9:10], v[9:10], -v[46:47]
	v_cvt_f32_f64_e32 v9, v[9:10]
	s_delay_alu instid0(VALU_DEP_1) | instskip(SKIP_1) | instid1(VALU_DEP_2)
	v_bfe_u32 v10, v9, 16, 1
	v_cmp_o_f32_e32 vcc_lo, v9, v9
	v_add3_u32 v10, v9, v10, 0x7fff
	s_delay_alu instid0(VALU_DEP_1) | instskip(NEXT) | instid1(VALU_DEP_1)
	v_lshrrev_b32_e32 v10, 16, v10
	v_cndmask_b32_e32 v46, 0x7fc0, v10, vcc_lo
	v_add_co_u32 v9, vcc_lo, v11, s14
	v_add_co_ci_u32_e32 v10, vcc_lo, s15, v12, vcc_lo
	global_store_b16 v[9:10], v46, off
.LBB3_67:                               ;   in Loop: Header=BB3_32 Depth=1
	s_or_b32 exec_lo, exec_lo, s22
	v_and_b32_e32 v9, 0xffff0000, v7
	v_cndmask_b32_e64 v48, v43, -v43, s24
	v_and_b32_e32 v43, 0xffff0000, v5
	s_delay_alu instid0(VALU_DEP_3) | instskip(NEXT) | instid1(VALU_DEP_3)
	v_cvt_f64_f32_e32 v[9:10], v9
	v_cvt_f64_f32_e32 v[46:47], v48
	s_delay_alu instid0(VALU_DEP_1) | instskip(NEXT) | instid1(VALU_DEP_1)
	v_fma_f64 v[46:47], v[9:10], s[10:11], v[46:47]
	v_cvt_f32_f64_e32 v46, v[46:47]
	s_delay_alu instid0(VALU_DEP_1) | instskip(NEXT) | instid1(VALU_DEP_1)
	v_cndmask_b32_e64 v46, v48, v46, s0
	v_fmac_f32_e32 v43, v46, v46
	s_and_saveexec_b32 s22, s2
	s_cbranch_execz .LBB3_69
; %bb.68:                               ;   in Loop: Header=BB3_32 Depth=1
	s_delay_alu instid0(VALU_DEP_1) | instskip(SKIP_1) | instid1(VALU_DEP_2)
	v_mul_f32_e32 v47, 0x4f800000, v43
	v_cmp_gt_f32_e32 vcc_lo, 0xf800000, v43
	v_cndmask_b32_e32 v47, v43, v47, vcc_lo
	s_delay_alu instid0(VALU_DEP_1) | instskip(SKIP_3) | instid1(VALU_DEP_2)
	v_sqrt_f32_e32 v48, v47
	s_waitcnt_depctr 0xfff
	v_add_nc_u32_e32 v49, -1, v48
	v_add_nc_u32_e32 v50, 1, v48
	v_fma_f32 v51, -v49, v48, v47
	s_delay_alu instid0(VALU_DEP_2) | instskip(NEXT) | instid1(VALU_DEP_2)
	v_fma_f32 v52, -v50, v48, v47
	v_cmp_ge_f32_e64 s5, 0, v51
	s_delay_alu instid0(VALU_DEP_1) | instskip(NEXT) | instid1(VALU_DEP_3)
	v_cndmask_b32_e64 v48, v48, v49, s5
	v_cmp_lt_f32_e64 s5, 0, v52
	s_delay_alu instid0(VALU_DEP_1) | instskip(NEXT) | instid1(VALU_DEP_1)
	v_cndmask_b32_e64 v48, v48, v50, s5
	v_mul_f32_e32 v49, 0x37800000, v48
	s_delay_alu instid0(VALU_DEP_1) | instskip(SKIP_1) | instid1(VALU_DEP_2)
	v_cndmask_b32_e32 v48, v48, v49, vcc_lo
	v_cmp_class_f32_e64 vcc_lo, v47, 0x260
	v_cndmask_b32_e32 v48, v48, v47, vcc_lo
	v_cvt_f64_f32_e32 v[46:47], v46
	s_delay_alu instid0(VALU_DEP_2) | instskip(NEXT) | instid1(VALU_DEP_2)
	v_cvt_f64_f32_e32 v[48:49], v48
	v_mul_f64 v[46:47], v[1:2], v[46:47]
	s_delay_alu instid0(VALU_DEP_2) | instskip(NEXT) | instid1(VALU_DEP_1)
	v_add_f64 v[48:49], v[48:49], s[16:17]
	v_div_scale_f64 v[50:51], null, v[48:49], v[48:49], v[46:47]
	v_div_scale_f64 v[56:57], vcc_lo, v[46:47], v[48:49], v[46:47]
	s_delay_alu instid0(VALU_DEP_2) | instskip(SKIP_2) | instid1(VALU_DEP_1)
	v_rcp_f64_e32 v[52:53], v[50:51]
	s_waitcnt_depctr 0xfff
	v_fma_f64 v[54:55], -v[50:51], v[52:53], 1.0
	v_fma_f64 v[52:53], v[52:53], v[54:55], v[52:53]
	s_delay_alu instid0(VALU_DEP_1) | instskip(NEXT) | instid1(VALU_DEP_1)
	v_fma_f64 v[54:55], -v[50:51], v[52:53], 1.0
	v_fma_f64 v[52:53], v[52:53], v[54:55], v[52:53]
	s_delay_alu instid0(VALU_DEP_1) | instskip(NEXT) | instid1(VALU_DEP_1)
	v_mul_f64 v[54:55], v[56:57], v[52:53]
	v_fma_f64 v[50:51], -v[50:51], v[54:55], v[56:57]
	s_delay_alu instid0(VALU_DEP_1) | instskip(NEXT) | instid1(VALU_DEP_1)
	v_div_fmas_f64 v[50:51], v[50:51], v[52:53], v[54:55]
	v_div_fixup_f64 v[46:47], v[50:51], v[48:49], v[46:47]
	s_delay_alu instid0(VALU_DEP_1) | instskip(NEXT) | instid1(VALU_DEP_1)
	v_add_f64 v[9:10], v[9:10], -v[46:47]
	v_cvt_f32_f64_e32 v9, v[9:10]
	s_delay_alu instid0(VALU_DEP_1) | instskip(SKIP_1) | instid1(VALU_DEP_2)
	v_bfe_u32 v10, v9, 16, 1
	v_cmp_o_f32_e32 vcc_lo, v9, v9
	v_add3_u32 v10, v9, v10, 0x7fff
	s_delay_alu instid0(VALU_DEP_1) | instskip(NEXT) | instid1(VALU_DEP_1)
	v_lshrrev_b32_e32 v10, 16, v10
	v_cndmask_b32_e32 v46, 0x7fc0, v10, vcc_lo
	v_add_co_u32 v9, vcc_lo, v35, s14
	v_add_co_ci_u32_e32 v10, vcc_lo, s15, v36, vcc_lo
	global_store_b16 v[9:10], v46, off
.LBB3_69:                               ;   in Loop: Header=BB3_32 Depth=1
	s_or_b32 exec_lo, exec_lo, s22
	v_alignbit_b32 v7, v8, v7, 16
	v_cndmask_b32_e64 v47, v45, -v45, s24
	v_alignbit_b32 v5, v6, v5, 16
	s_delay_alu instid0(VALU_DEP_3) | instskip(NEXT) | instid1(VALU_DEP_3)
	v_and_b32_e32 v7, 0xffff0000, v7
	v_cvt_f64_f32_e32 v[45:46], v47
	s_delay_alu instid0(VALU_DEP_3) | instskip(NEXT) | instid1(VALU_DEP_3)
	v_and_b32_e32 v5, 0xffff0000, v5
	v_cvt_f64_f32_e32 v[9:10], v7
	s_delay_alu instid0(VALU_DEP_1) | instskip(NEXT) | instid1(VALU_DEP_1)
	v_fma_f64 v[45:46], v[9:10], s[10:11], v[45:46]
	v_cvt_f32_f64_e32 v7, v[45:46]
	s_delay_alu instid0(VALU_DEP_1) | instskip(NEXT) | instid1(VALU_DEP_1)
	v_cndmask_b32_e64 v7, v47, v7, s0
	v_fmac_f32_e32 v5, v7, v7
	s_and_saveexec_b32 s22, s3
	s_cbranch_execz .LBB3_71
; %bb.70:                               ;   in Loop: Header=BB3_32 Depth=1
	s_delay_alu instid0(VALU_DEP_1) | instskip(SKIP_1) | instid1(VALU_DEP_2)
	v_mul_f32_e32 v45, 0x4f800000, v5
	v_cmp_gt_f32_e32 vcc_lo, 0xf800000, v5
	v_cndmask_b32_e32 v45, v5, v45, vcc_lo
	s_delay_alu instid0(VALU_DEP_1) | instskip(SKIP_3) | instid1(VALU_DEP_2)
	v_sqrt_f32_e32 v46, v45
	s_waitcnt_depctr 0xfff
	v_add_nc_u32_e32 v47, -1, v46
	v_add_nc_u32_e32 v48, 1, v46
	v_fma_f32 v49, -v47, v46, v45
	s_delay_alu instid0(VALU_DEP_2) | instskip(NEXT) | instid1(VALU_DEP_2)
	v_fma_f32 v50, -v48, v46, v45
	v_cmp_ge_f32_e64 s5, 0, v49
	s_delay_alu instid0(VALU_DEP_1) | instskip(NEXT) | instid1(VALU_DEP_3)
	v_cndmask_b32_e64 v46, v46, v47, s5
	v_cmp_lt_f32_e64 s5, 0, v50
	s_delay_alu instid0(VALU_DEP_1) | instskip(NEXT) | instid1(VALU_DEP_1)
	v_cndmask_b32_e64 v46, v46, v48, s5
	v_mul_f32_e32 v47, 0x37800000, v46
	s_delay_alu instid0(VALU_DEP_1) | instskip(SKIP_1) | instid1(VALU_DEP_2)
	v_cndmask_b32_e32 v46, v46, v47, vcc_lo
	v_cmp_class_f32_e64 vcc_lo, v45, 0x260
	v_cndmask_b32_e32 v47, v46, v45, vcc_lo
	v_cvt_f64_f32_e32 v[45:46], v7
	s_delay_alu instid0(VALU_DEP_2) | instskip(NEXT) | instid1(VALU_DEP_2)
	v_cvt_f64_f32_e32 v[47:48], v47
	v_mul_f64 v[45:46], v[1:2], v[45:46]
	s_delay_alu instid0(VALU_DEP_2) | instskip(NEXT) | instid1(VALU_DEP_1)
	v_add_f64 v[47:48], v[47:48], s[16:17]
	v_div_scale_f64 v[49:50], null, v[47:48], v[47:48], v[45:46]
	v_div_scale_f64 v[55:56], vcc_lo, v[45:46], v[47:48], v[45:46]
	s_delay_alu instid0(VALU_DEP_2) | instskip(SKIP_2) | instid1(VALU_DEP_1)
	v_rcp_f64_e32 v[51:52], v[49:50]
	s_waitcnt_depctr 0xfff
	v_fma_f64 v[53:54], -v[49:50], v[51:52], 1.0
	v_fma_f64 v[51:52], v[51:52], v[53:54], v[51:52]
	s_delay_alu instid0(VALU_DEP_1) | instskip(NEXT) | instid1(VALU_DEP_1)
	v_fma_f64 v[53:54], -v[49:50], v[51:52], 1.0
	v_fma_f64 v[51:52], v[51:52], v[53:54], v[51:52]
	s_delay_alu instid0(VALU_DEP_1) | instskip(NEXT) | instid1(VALU_DEP_1)
	v_mul_f64 v[53:54], v[55:56], v[51:52]
	v_fma_f64 v[49:50], -v[49:50], v[53:54], v[55:56]
	s_delay_alu instid0(VALU_DEP_1) | instskip(NEXT) | instid1(VALU_DEP_1)
	v_div_fmas_f64 v[49:50], v[49:50], v[51:52], v[53:54]
	v_div_fixup_f64 v[45:46], v[49:50], v[47:48], v[45:46]
	s_delay_alu instid0(VALU_DEP_1) | instskip(NEXT) | instid1(VALU_DEP_1)
	v_add_f64 v[9:10], v[9:10], -v[45:46]
	v_cvt_f32_f64_e32 v7, v[9:10]
	s_delay_alu instid0(VALU_DEP_1) | instskip(SKIP_1) | instid1(VALU_DEP_2)
	v_bfe_u32 v9, v7, 16, 1
	v_cmp_o_f32_e32 vcc_lo, v7, v7
	v_add3_u32 v9, v7, v9, 0x7fff
	s_delay_alu instid0(VALU_DEP_1) | instskip(NEXT) | instid1(VALU_DEP_1)
	v_lshrrev_b32_e32 v9, 16, v9
	v_cndmask_b32_e32 v7, 0x7fc0, v9, vcc_lo
	v_add_co_u32 v9, vcc_lo, v25, s14
	v_add_co_ci_u32_e32 v10, vcc_lo, s15, v26, vcc_lo
	global_store_b16 v[9:10], v7, off
.LBB3_71:                               ;   in Loop: Header=BB3_32 Depth=1
	s_or_b32 exec_lo, exec_lo, s22
	v_cndmask_b32_e64 v44, v44, -v44, s24
	v_and_b32_e32 v6, 0xffff0000, v6
	v_and_b32_e32 v7, 0xffff0000, v8
	s_delay_alu instid0(VALU_DEP_3) | instskip(NEXT) | instid1(VALU_DEP_2)
	v_cvt_f64_f32_e32 v[9:10], v44
	v_cvt_f64_f32_e32 v[7:8], v7
	s_delay_alu instid0(VALU_DEP_1) | instskip(NEXT) | instid1(VALU_DEP_1)
	v_fma_f64 v[9:10], v[7:8], s[10:11], v[9:10]
	v_cvt_f32_f64_e32 v9, v[9:10]
	s_delay_alu instid0(VALU_DEP_1) | instskip(NEXT) | instid1(VALU_DEP_1)
	v_cndmask_b32_e64 v9, v44, v9, s0
	v_fmac_f32_e32 v6, v9, v9
	s_and_saveexec_b32 s22, s4
	s_cbranch_execz .LBB3_73
; %bb.72:                               ;   in Loop: Header=BB3_32 Depth=1
	s_delay_alu instid0(VALU_DEP_1) | instskip(SKIP_1) | instid1(VALU_DEP_2)
	v_mul_f32_e32 v10, 0x4f800000, v6
	v_cmp_gt_f32_e32 vcc_lo, 0xf800000, v6
	v_cndmask_b32_e32 v10, v6, v10, vcc_lo
	s_delay_alu instid0(VALU_DEP_1) | instskip(SKIP_3) | instid1(VALU_DEP_2)
	v_sqrt_f32_e32 v44, v10
	s_waitcnt_depctr 0xfff
	v_add_nc_u32_e32 v45, -1, v44
	v_add_nc_u32_e32 v46, 1, v44
	v_fma_f32 v47, -v45, v44, v10
	s_delay_alu instid0(VALU_DEP_2) | instskip(NEXT) | instid1(VALU_DEP_2)
	v_fma_f32 v48, -v46, v44, v10
	v_cmp_ge_f32_e64 s5, 0, v47
	s_delay_alu instid0(VALU_DEP_1) | instskip(NEXT) | instid1(VALU_DEP_3)
	v_cndmask_b32_e64 v44, v44, v45, s5
	v_cmp_lt_f32_e64 s5, 0, v48
	s_delay_alu instid0(VALU_DEP_1) | instskip(NEXT) | instid1(VALU_DEP_1)
	v_cndmask_b32_e64 v44, v44, v46, s5
	v_mul_f32_e32 v45, 0x37800000, v44
	s_delay_alu instid0(VALU_DEP_1) | instskip(SKIP_1) | instid1(VALU_DEP_2)
	v_cndmask_b32_e32 v44, v44, v45, vcc_lo
	v_cmp_class_f32_e64 vcc_lo, v10, 0x260
	v_cndmask_b32_e32 v44, v44, v10, vcc_lo
	v_cvt_f64_f32_e32 v[9:10], v9
	s_delay_alu instid0(VALU_DEP_2) | instskip(NEXT) | instid1(VALU_DEP_2)
	v_cvt_f64_f32_e32 v[44:45], v44
	v_mul_f64 v[9:10], v[1:2], v[9:10]
	s_delay_alu instid0(VALU_DEP_2) | instskip(NEXT) | instid1(VALU_DEP_1)
	v_add_f64 v[44:45], v[44:45], s[16:17]
	v_div_scale_f64 v[46:47], null, v[44:45], v[44:45], v[9:10]
	v_div_scale_f64 v[52:53], vcc_lo, v[9:10], v[44:45], v[9:10]
	s_delay_alu instid0(VALU_DEP_2) | instskip(SKIP_2) | instid1(VALU_DEP_1)
	v_rcp_f64_e32 v[48:49], v[46:47]
	s_waitcnt_depctr 0xfff
	v_fma_f64 v[50:51], -v[46:47], v[48:49], 1.0
	v_fma_f64 v[48:49], v[48:49], v[50:51], v[48:49]
	s_delay_alu instid0(VALU_DEP_1) | instskip(NEXT) | instid1(VALU_DEP_1)
	v_fma_f64 v[50:51], -v[46:47], v[48:49], 1.0
	v_fma_f64 v[48:49], v[48:49], v[50:51], v[48:49]
	s_delay_alu instid0(VALU_DEP_1) | instskip(NEXT) | instid1(VALU_DEP_1)
	v_mul_f64 v[50:51], v[52:53], v[48:49]
	v_fma_f64 v[46:47], -v[46:47], v[50:51], v[52:53]
	s_delay_alu instid0(VALU_DEP_1) | instskip(NEXT) | instid1(VALU_DEP_1)
	v_div_fmas_f64 v[46:47], v[46:47], v[48:49], v[50:51]
	v_div_fixup_f64 v[9:10], v[46:47], v[44:45], v[9:10]
	s_delay_alu instid0(VALU_DEP_1) | instskip(NEXT) | instid1(VALU_DEP_1)
	v_add_f64 v[7:8], v[7:8], -v[9:10]
	v_cvt_f32_f64_e32 v7, v[7:8]
	s_delay_alu instid0(VALU_DEP_1) | instskip(SKIP_1) | instid1(VALU_DEP_2)
	v_bfe_u32 v8, v7, 16, 1
	v_cmp_o_f32_e32 vcc_lo, v7, v7
	v_add3_u32 v8, v7, v8, 0x7fff
	s_delay_alu instid0(VALU_DEP_1) | instskip(NEXT) | instid1(VALU_DEP_1)
	v_lshrrev_b32_e32 v8, 16, v8
	v_cndmask_b32_e32 v9, 0x7fc0, v8, vcc_lo
	v_add_co_u32 v7, vcc_lo, v17, s14
	v_add_co_ci_u32_e32 v8, vcc_lo, s15, v18, vcc_lo
	global_store_b16 v[7:8], v9, off
.LBB3_73:                               ;   in Loop: Header=BB3_32 Depth=1
	s_or_b32 exec_lo, exec_lo, s22
	s_delay_alu instid0(SALU_CYCLE_1)
	s_and_not1_b32 vcc_lo, exec_lo, s25
	s_cbranch_vccnz .LBB3_80
; %bb.74:                               ;   in Loop: Header=BB3_32 Depth=1
	s_and_saveexec_b32 s5, s1
	s_cbranch_execnz .LBB3_88
; %bb.75:                               ;   in Loop: Header=BB3_32 Depth=1
	s_or_b32 exec_lo, exec_lo, s5
	s_and_saveexec_b32 s5, s2
	s_cbranch_execnz .LBB3_89
.LBB3_76:                               ;   in Loop: Header=BB3_32 Depth=1
	s_or_b32 exec_lo, exec_lo, s5
	s_and_saveexec_b32 s5, s3
	s_cbranch_execnz .LBB3_90
.LBB3_77:                               ;   in Loop: Header=BB3_32 Depth=1
	s_or_b32 exec_lo, exec_lo, s5
	s_and_saveexec_b32 s5, s4
	s_cbranch_execz .LBB3_79
.LBB3_78:                               ;   in Loop: Header=BB3_32 Depth=1
	v_add_co_u32 v7, vcc_lo, v19, s14
	v_add_co_ci_u32_e32 v8, vcc_lo, s15, v20, vcc_lo
	global_store_d16_hi_b16 v[7:8], v3, off
.LBB3_79:                               ;   in Loop: Header=BB3_32 Depth=1
	s_or_b32 exec_lo, exec_lo, s5
.LBB3_80:                               ;   in Loop: Header=BB3_32 Depth=1
	s_and_saveexec_b32 s5, s1
	s_cbranch_execnz .LBB3_84
; %bb.81:                               ;   in Loop: Header=BB3_32 Depth=1
	s_or_b32 exec_lo, exec_lo, s5
	s_and_saveexec_b32 s1, s2
	s_cbranch_execnz .LBB3_85
.LBB3_82:                               ;   in Loop: Header=BB3_32 Depth=1
	s_or_b32 exec_lo, exec_lo, s1
	s_and_saveexec_b32 s1, s3
	s_cbranch_execnz .LBB3_86
.LBB3_83:                               ;   in Loop: Header=BB3_32 Depth=1
	s_or_b32 exec_lo, exec_lo, s1
	s_and_saveexec_b32 s1, s4
	s_cbranch_execz .LBB3_31
	s_branch .LBB3_87
.LBB3_84:                               ;   in Loop: Header=BB3_32 Depth=1
	v_bfe_u32 v3, v42, 16, 1
	v_cmp_o_f32_e32 vcc_lo, v42, v42
	s_delay_alu instid0(VALU_DEP_2) | instskip(NEXT) | instid1(VALU_DEP_1)
	v_add3_u32 v3, v42, v3, 0x7fff
	v_lshrrev_b32_e32 v3, 16, v3
	s_delay_alu instid0(VALU_DEP_1)
	v_cndmask_b32_e32 v3, 0x7fc0, v3, vcc_lo
	v_add_co_u32 v7, vcc_lo, v15, s14
	v_add_co_ci_u32_e32 v8, vcc_lo, s15, v16, vcc_lo
	global_store_b16 v[7:8], v3, off
	s_or_b32 exec_lo, exec_lo, s5
	s_and_saveexec_b32 s1, s2
	s_cbranch_execz .LBB3_82
.LBB3_85:                               ;   in Loop: Header=BB3_32 Depth=1
	v_bfe_u32 v3, v43, 16, 1
	v_cmp_o_f32_e32 vcc_lo, v43, v43
	s_delay_alu instid0(VALU_DEP_2) | instskip(NEXT) | instid1(VALU_DEP_1)
	v_add3_u32 v3, v43, v3, 0x7fff
	v_lshrrev_b32_e32 v3, 16, v3
	s_delay_alu instid0(VALU_DEP_1)
	v_cndmask_b32_e32 v3, 0x7fc0, v3, vcc_lo
	v_add_co_u32 v7, vcc_lo, v39, s14
	v_add_co_ci_u32_e32 v8, vcc_lo, s15, v40, vcc_lo
	global_store_b16 v[7:8], v3, off
	s_or_b32 exec_lo, exec_lo, s1
	s_and_saveexec_b32 s1, s3
	s_cbranch_execz .LBB3_83
.LBB3_86:                               ;   in Loop: Header=BB3_32 Depth=1
	v_bfe_u32 v3, v5, 16, 1
	v_cmp_o_f32_e32 vcc_lo, v5, v5
	s_delay_alu instid0(VALU_DEP_2) | instskip(NEXT) | instid1(VALU_DEP_1)
	v_add3_u32 v3, v5, v3, 0x7fff
	v_lshrrev_b32_e32 v3, 16, v3
	s_delay_alu instid0(VALU_DEP_1)
	v_cndmask_b32_e32 v3, 0x7fc0, v3, vcc_lo
	v_add_co_u32 v7, vcc_lo, v30, s14
	v_add_co_ci_u32_e32 v8, vcc_lo, s15, v31, vcc_lo
	global_store_b16 v[7:8], v3, off
	s_or_b32 exec_lo, exec_lo, s1
	s_and_saveexec_b32 s1, s4
	s_cbranch_execz .LBB3_31
.LBB3_87:                               ;   in Loop: Header=BB3_32 Depth=1
	v_bfe_u32 v3, v6, 16, 1
	v_cmp_o_f32_e32 vcc_lo, v6, v6
	s_delay_alu instid0(VALU_DEP_2) | instskip(NEXT) | instid1(VALU_DEP_1)
	v_add3_u32 v3, v6, v3, 0x7fff
	v_lshrrev_b32_e32 v3, 16, v3
	s_delay_alu instid0(VALU_DEP_1)
	v_cndmask_b32_e32 v3, 0x7fc0, v3, vcc_lo
	v_add_co_u32 v5, vcc_lo, v21, s14
	v_add_co_ci_u32_e32 v6, vcc_lo, s15, v22, vcc_lo
	global_store_b16 v[5:6], v3, off
	s_branch .LBB3_31
.LBB3_88:                               ;   in Loop: Header=BB3_32 Depth=1
	v_add_co_u32 v7, vcc_lo, v13, s14
	v_add_co_ci_u32_e32 v8, vcc_lo, s15, v14, vcc_lo
	global_store_b16 v[7:8], v41, off
	s_or_b32 exec_lo, exec_lo, s5
	s_and_saveexec_b32 s5, s2
	s_cbranch_execz .LBB3_76
.LBB3_89:                               ;   in Loop: Header=BB3_32 Depth=1
	v_add_co_u32 v7, vcc_lo, v37, s14
	v_add_co_ci_u32_e32 v8, vcc_lo, s15, v38, vcc_lo
	global_store_d16_hi_b16 v[7:8], v41, off
	s_or_b32 exec_lo, exec_lo, s5
	s_and_saveexec_b32 s5, s3
	s_cbranch_execz .LBB3_77
.LBB3_90:                               ;   in Loop: Header=BB3_32 Depth=1
	v_add_co_u32 v7, vcc_lo, v27, s14
	v_add_co_ci_u32_e32 v8, vcc_lo, s15, v28, vcc_lo
	global_store_b16 v[7:8], v3, off
	s_or_b32 exec_lo, exec_lo, s5
	s_and_saveexec_b32 s5, s4
	s_cbranch_execnz .LBB3_78
	s_branch .LBB3_79
.LBB3_91:
	s_nop 0
	s_sendmsg sendmsg(MSG_DEALLOC_VGPRS)
	s_endpgm
	.section	.rodata,"a",@progbits
	.p2align	6, 0x0
	.amdhsa_kernel _ZN2at6native12_GLOBAL__N_125multi_tensor_apply_kernelINS1_32FusedOptimizerTensorListMetadataILi3EEENS1_23FusedAdagradMathFunctorIN3c108BFloat16EEEJPKfddddbSA_SA_EEEvT_T0_DpT1_
		.amdhsa_group_segment_fixed_size 0
		.amdhsa_private_segment_fixed_size 0
		.amdhsa_kernarg_size 3856
		.amdhsa_user_sgpr_count 15
		.amdhsa_user_sgpr_dispatch_ptr 0
		.amdhsa_user_sgpr_queue_ptr 0
		.amdhsa_user_sgpr_kernarg_segment_ptr 1
		.amdhsa_user_sgpr_dispatch_id 0
		.amdhsa_user_sgpr_private_segment_size 0
		.amdhsa_wavefront_size32 1
		.amdhsa_uses_dynamic_stack 0
		.amdhsa_enable_private_segment 0
		.amdhsa_system_sgpr_workgroup_id_x 1
		.amdhsa_system_sgpr_workgroup_id_y 0
		.amdhsa_system_sgpr_workgroup_id_z 0
		.amdhsa_system_sgpr_workgroup_info 0
		.amdhsa_system_vgpr_workitem_id 0
		.amdhsa_next_free_vgpr 77
		.amdhsa_next_free_sgpr 29
		.amdhsa_reserve_vcc 1
		.amdhsa_float_round_mode_32 0
		.amdhsa_float_round_mode_16_64 0
		.amdhsa_float_denorm_mode_32 3
		.amdhsa_float_denorm_mode_16_64 3
		.amdhsa_dx10_clamp 1
		.amdhsa_ieee_mode 1
		.amdhsa_fp16_overflow 0
		.amdhsa_workgroup_processor_mode 1
		.amdhsa_memory_ordered 1
		.amdhsa_forward_progress 0
		.amdhsa_shared_vgpr_count 0
		.amdhsa_exception_fp_ieee_invalid_op 0
		.amdhsa_exception_fp_denorm_src 0
		.amdhsa_exception_fp_ieee_div_zero 0
		.amdhsa_exception_fp_ieee_overflow 0
		.amdhsa_exception_fp_ieee_underflow 0
		.amdhsa_exception_fp_ieee_inexact 0
		.amdhsa_exception_int_div_zero 0
	.end_amdhsa_kernel
	.section	.text._ZN2at6native12_GLOBAL__N_125multi_tensor_apply_kernelINS1_32FusedOptimizerTensorListMetadataILi3EEENS1_23FusedAdagradMathFunctorIN3c108BFloat16EEEJPKfddddbSA_SA_EEEvT_T0_DpT1_,"axG",@progbits,_ZN2at6native12_GLOBAL__N_125multi_tensor_apply_kernelINS1_32FusedOptimizerTensorListMetadataILi3EEENS1_23FusedAdagradMathFunctorIN3c108BFloat16EEEJPKfddddbSA_SA_EEEvT_T0_DpT1_,comdat
.Lfunc_end3:
	.size	_ZN2at6native12_GLOBAL__N_125multi_tensor_apply_kernelINS1_32FusedOptimizerTensorListMetadataILi3EEENS1_23FusedAdagradMathFunctorIN3c108BFloat16EEEJPKfddddbSA_SA_EEEvT_T0_DpT1_, .Lfunc_end3-_ZN2at6native12_GLOBAL__N_125multi_tensor_apply_kernelINS1_32FusedOptimizerTensorListMetadataILi3EEENS1_23FusedAdagradMathFunctorIN3c108BFloat16EEEJPKfddddbSA_SA_EEEvT_T0_DpT1_
                                        ; -- End function
	.section	.AMDGPU.csdata,"",@progbits
; Kernel info:
; codeLenInByte = 7628
; NumSgprs: 31
; NumVgprs: 77
; ScratchSize: 0
; MemoryBound: 0
; FloatMode: 240
; IeeeMode: 1
; LDSByteSize: 0 bytes/workgroup (compile time only)
; SGPRBlocks: 3
; VGPRBlocks: 9
; NumSGPRsForWavesPerEU: 31
; NumVGPRsForWavesPerEU: 77
; Occupancy: 16
; WaveLimiterHint : 0
; COMPUTE_PGM_RSRC2:SCRATCH_EN: 0
; COMPUTE_PGM_RSRC2:USER_SGPR: 15
; COMPUTE_PGM_RSRC2:TRAP_HANDLER: 0
; COMPUTE_PGM_RSRC2:TGID_X_EN: 1
; COMPUTE_PGM_RSRC2:TGID_Y_EN: 0
; COMPUTE_PGM_RSRC2:TGID_Z_EN: 0
; COMPUTE_PGM_RSRC2:TIDIG_COMP_CNT: 0
	.text
	.p2alignl 7, 3214868480
	.fill 96, 4, 3214868480
	.type	__hip_cuid_5c5fb6e20f17f14b,@object ; @__hip_cuid_5c5fb6e20f17f14b
	.section	.bss,"aw",@nobits
	.globl	__hip_cuid_5c5fb6e20f17f14b
__hip_cuid_5c5fb6e20f17f14b:
	.byte	0                               ; 0x0
	.size	__hip_cuid_5c5fb6e20f17f14b, 1

	.ident	"AMD clang version 19.0.0git (https://github.com/RadeonOpenCompute/llvm-project roc-6.4.0 25133 c7fe45cf4b819c5991fe208aaa96edf142730f1d)"
	.section	".note.GNU-stack","",@progbits
	.addrsig
	.addrsig_sym __hip_cuid_5c5fb6e20f17f14b
	.amdgpu_metadata
---
amdhsa.kernels:
  - .args:
      - .offset:         0
        .size:           3528
        .value_kind:     by_value
      - .offset:         3528
        .size:           1
        .value_kind:     by_value
      - .address_space:  global
        .offset:         3536
        .size:           8
        .value_kind:     global_buffer
      - .offset:         3544
        .size:           8
        .value_kind:     by_value
      - .offset:         3552
        .size:           8
        .value_kind:     by_value
      - .offset:         3560
        .size:           8
        .value_kind:     by_value
      - .offset:         3568
        .size:           8
        .value_kind:     by_value
      - .offset:         3576
        .size:           1
        .value_kind:     by_value
      - .address_space:  global
        .offset:         3584
        .size:           8
        .value_kind:     global_buffer
      - .address_space:  global
        .offset:         3592
        .size:           8
        .value_kind:     global_buffer
      - .offset:         3600
        .size:           4
        .value_kind:     hidden_block_count_x
      - .offset:         3604
        .size:           4
        .value_kind:     hidden_block_count_y
      - .offset:         3608
        .size:           4
        .value_kind:     hidden_block_count_z
      - .offset:         3612
        .size:           2
        .value_kind:     hidden_group_size_x
      - .offset:         3614
        .size:           2
        .value_kind:     hidden_group_size_y
      - .offset:         3616
        .size:           2
        .value_kind:     hidden_group_size_z
      - .offset:         3618
        .size:           2
        .value_kind:     hidden_remainder_x
      - .offset:         3620
        .size:           2
        .value_kind:     hidden_remainder_y
      - .offset:         3622
        .size:           2
        .value_kind:     hidden_remainder_z
      - .offset:         3640
        .size:           8
        .value_kind:     hidden_global_offset_x
      - .offset:         3648
        .size:           8
        .value_kind:     hidden_global_offset_y
      - .offset:         3656
        .size:           8
        .value_kind:     hidden_global_offset_z
      - .offset:         3664
        .size:           2
        .value_kind:     hidden_grid_dims
    .group_segment_fixed_size: 0
    .kernarg_segment_align: 8
    .kernarg_segment_size: 3856
    .language:       OpenCL C
    .language_version:
      - 2
      - 0
    .max_flat_workgroup_size: 512
    .name:           _ZN2at6native12_GLOBAL__N_125multi_tensor_apply_kernelINS1_32FusedOptimizerTensorListMetadataILi3EEENS1_23FusedAdagradMathFunctorIdEEJPKfddddbS8_S8_EEEvT_T0_DpT1_
    .private_segment_fixed_size: 0
    .sgpr_count:     37
    .sgpr_spill_count: 0
    .symbol:         _ZN2at6native12_GLOBAL__N_125multi_tensor_apply_kernelINS1_32FusedOptimizerTensorListMetadataILi3EEENS1_23FusedAdagradMathFunctorIdEEJPKfddddbS8_S8_EEEvT_T0_DpT1_.kd
    .uniform_work_group_size: 1
    .uses_dynamic_stack: false
    .vgpr_count:     86
    .vgpr_spill_count: 0
    .wavefront_size: 32
    .workgroup_processor_mode: 1
  - .args:
      - .offset:         0
        .size:           3528
        .value_kind:     by_value
      - .offset:         3528
        .size:           1
        .value_kind:     by_value
      - .address_space:  global
        .offset:         3536
        .size:           8
        .value_kind:     global_buffer
      - .offset:         3544
        .size:           8
        .value_kind:     by_value
      - .offset:         3552
        .size:           8
        .value_kind:     by_value
      - .offset:         3560
        .size:           8
        .value_kind:     by_value
      - .offset:         3568
        .size:           8
        .value_kind:     by_value
      - .offset:         3576
        .size:           1
        .value_kind:     by_value
      - .address_space:  global
        .offset:         3584
        .size:           8
        .value_kind:     global_buffer
      - .address_space:  global
        .offset:         3592
        .size:           8
        .value_kind:     global_buffer
      - .offset:         3600
        .size:           4
        .value_kind:     hidden_block_count_x
      - .offset:         3604
        .size:           4
        .value_kind:     hidden_block_count_y
      - .offset:         3608
        .size:           4
        .value_kind:     hidden_block_count_z
      - .offset:         3612
        .size:           2
        .value_kind:     hidden_group_size_x
      - .offset:         3614
        .size:           2
        .value_kind:     hidden_group_size_y
      - .offset:         3616
        .size:           2
        .value_kind:     hidden_group_size_z
      - .offset:         3618
        .size:           2
        .value_kind:     hidden_remainder_x
      - .offset:         3620
        .size:           2
        .value_kind:     hidden_remainder_y
      - .offset:         3622
        .size:           2
        .value_kind:     hidden_remainder_z
      - .offset:         3640
        .size:           8
        .value_kind:     hidden_global_offset_x
      - .offset:         3648
        .size:           8
        .value_kind:     hidden_global_offset_y
      - .offset:         3656
        .size:           8
        .value_kind:     hidden_global_offset_z
      - .offset:         3664
        .size:           2
        .value_kind:     hidden_grid_dims
    .group_segment_fixed_size: 0
    .kernarg_segment_align: 8
    .kernarg_segment_size: 3856
    .language:       OpenCL C
    .language_version:
      - 2
      - 0
    .max_flat_workgroup_size: 512
    .name:           _ZN2at6native12_GLOBAL__N_125multi_tensor_apply_kernelINS1_32FusedOptimizerTensorListMetadataILi3EEENS1_23FusedAdagradMathFunctorIfEEJPKfddddbS8_S8_EEEvT_T0_DpT1_
    .private_segment_fixed_size: 0
    .sgpr_count:     38
    .sgpr_spill_count: 0
    .symbol:         _ZN2at6native12_GLOBAL__N_125multi_tensor_apply_kernelINS1_32FusedOptimizerTensorListMetadataILi3EEENS1_23FusedAdagradMathFunctorIfEEJPKfddddbS8_S8_EEEvT_T0_DpT1_.kd
    .uniform_work_group_size: 1
    .uses_dynamic_stack: false
    .vgpr_count:     80
    .vgpr_spill_count: 0
    .wavefront_size: 32
    .workgroup_processor_mode: 1
  - .args:
      - .offset:         0
        .size:           3528
        .value_kind:     by_value
      - .offset:         3528
        .size:           1
        .value_kind:     by_value
      - .address_space:  global
        .offset:         3536
        .size:           8
        .value_kind:     global_buffer
      - .offset:         3544
        .size:           8
        .value_kind:     by_value
      - .offset:         3552
        .size:           8
        .value_kind:     by_value
      - .offset:         3560
        .size:           8
        .value_kind:     by_value
      - .offset:         3568
        .size:           8
        .value_kind:     by_value
      - .offset:         3576
        .size:           1
        .value_kind:     by_value
      - .address_space:  global
        .offset:         3584
        .size:           8
        .value_kind:     global_buffer
      - .address_space:  global
        .offset:         3592
        .size:           8
        .value_kind:     global_buffer
      - .offset:         3600
        .size:           4
        .value_kind:     hidden_block_count_x
      - .offset:         3604
        .size:           4
        .value_kind:     hidden_block_count_y
      - .offset:         3608
        .size:           4
        .value_kind:     hidden_block_count_z
      - .offset:         3612
        .size:           2
        .value_kind:     hidden_group_size_x
      - .offset:         3614
        .size:           2
        .value_kind:     hidden_group_size_y
      - .offset:         3616
        .size:           2
        .value_kind:     hidden_group_size_z
      - .offset:         3618
        .size:           2
        .value_kind:     hidden_remainder_x
      - .offset:         3620
        .size:           2
        .value_kind:     hidden_remainder_y
      - .offset:         3622
        .size:           2
        .value_kind:     hidden_remainder_z
      - .offset:         3640
        .size:           8
        .value_kind:     hidden_global_offset_x
      - .offset:         3648
        .size:           8
        .value_kind:     hidden_global_offset_y
      - .offset:         3656
        .size:           8
        .value_kind:     hidden_global_offset_z
      - .offset:         3664
        .size:           2
        .value_kind:     hidden_grid_dims
    .group_segment_fixed_size: 0
    .kernarg_segment_align: 8
    .kernarg_segment_size: 3856
    .language:       OpenCL C
    .language_version:
      - 2
      - 0
    .max_flat_workgroup_size: 512
    .name:           _ZN2at6native12_GLOBAL__N_125multi_tensor_apply_kernelINS1_32FusedOptimizerTensorListMetadataILi3EEENS1_23FusedAdagradMathFunctorIN3c104HalfEEEJPKfddddbSA_SA_EEEvT_T0_DpT1_
    .private_segment_fixed_size: 0
    .sgpr_count:     38
    .sgpr_spill_count: 0
    .symbol:         _ZN2at6native12_GLOBAL__N_125multi_tensor_apply_kernelINS1_32FusedOptimizerTensorListMetadataILi3EEENS1_23FusedAdagradMathFunctorIN3c104HalfEEEJPKfddddbSA_SA_EEEvT_T0_DpT1_.kd
    .uniform_work_group_size: 1
    .uses_dynamic_stack: false
    .vgpr_count:     77
    .vgpr_spill_count: 0
    .wavefront_size: 32
    .workgroup_processor_mode: 1
  - .args:
      - .offset:         0
        .size:           3528
        .value_kind:     by_value
      - .offset:         3528
        .size:           1
        .value_kind:     by_value
      - .address_space:  global
        .offset:         3536
        .size:           8
        .value_kind:     global_buffer
      - .offset:         3544
        .size:           8
        .value_kind:     by_value
      - .offset:         3552
        .size:           8
        .value_kind:     by_value
      - .offset:         3560
        .size:           8
        .value_kind:     by_value
      - .offset:         3568
        .size:           8
        .value_kind:     by_value
      - .offset:         3576
        .size:           1
        .value_kind:     by_value
      - .address_space:  global
        .offset:         3584
        .size:           8
        .value_kind:     global_buffer
      - .address_space:  global
        .offset:         3592
        .size:           8
        .value_kind:     global_buffer
      - .offset:         3600
        .size:           4
        .value_kind:     hidden_block_count_x
      - .offset:         3604
        .size:           4
        .value_kind:     hidden_block_count_y
      - .offset:         3608
        .size:           4
        .value_kind:     hidden_block_count_z
      - .offset:         3612
        .size:           2
        .value_kind:     hidden_group_size_x
      - .offset:         3614
        .size:           2
        .value_kind:     hidden_group_size_y
      - .offset:         3616
        .size:           2
        .value_kind:     hidden_group_size_z
      - .offset:         3618
        .size:           2
        .value_kind:     hidden_remainder_x
      - .offset:         3620
        .size:           2
        .value_kind:     hidden_remainder_y
      - .offset:         3622
        .size:           2
        .value_kind:     hidden_remainder_z
      - .offset:         3640
        .size:           8
        .value_kind:     hidden_global_offset_x
      - .offset:         3648
        .size:           8
        .value_kind:     hidden_global_offset_y
      - .offset:         3656
        .size:           8
        .value_kind:     hidden_global_offset_z
      - .offset:         3664
        .size:           2
        .value_kind:     hidden_grid_dims
    .group_segment_fixed_size: 0
    .kernarg_segment_align: 8
    .kernarg_segment_size: 3856
    .language:       OpenCL C
    .language_version:
      - 2
      - 0
    .max_flat_workgroup_size: 512
    .name:           _ZN2at6native12_GLOBAL__N_125multi_tensor_apply_kernelINS1_32FusedOptimizerTensorListMetadataILi3EEENS1_23FusedAdagradMathFunctorIN3c108BFloat16EEEJPKfddddbSA_SA_EEEvT_T0_DpT1_
    .private_segment_fixed_size: 0
    .sgpr_count:     31
    .sgpr_spill_count: 0
    .symbol:         _ZN2at6native12_GLOBAL__N_125multi_tensor_apply_kernelINS1_32FusedOptimizerTensorListMetadataILi3EEENS1_23FusedAdagradMathFunctorIN3c108BFloat16EEEJPKfddddbSA_SA_EEEvT_T0_DpT1_.kd
    .uniform_work_group_size: 1
    .uses_dynamic_stack: false
    .vgpr_count:     77
    .vgpr_spill_count: 0
    .wavefront_size: 32
    .workgroup_processor_mode: 1
amdhsa.target:   amdgcn-amd-amdhsa--gfx1100
amdhsa.version:
  - 1
  - 2
...

	.end_amdgpu_metadata
